;; amdgpu-corpus repo=ROCm/rocFFT kind=compiled arch=gfx1201 opt=O3
	.text
	.amdgcn_target "amdgcn-amd-amdhsa--gfx1201"
	.amdhsa_code_object_version 6
	.protected	bluestein_single_back_len352_dim1_sp_op_CI_CI ; -- Begin function bluestein_single_back_len352_dim1_sp_op_CI_CI
	.globl	bluestein_single_back_len352_dim1_sp_op_CI_CI
	.p2align	8
	.type	bluestein_single_back_len352_dim1_sp_op_CI_CI,@function
bluestein_single_back_len352_dim1_sp_op_CI_CI: ; @bluestein_single_back_len352_dim1_sp_op_CI_CI
; %bb.0:
	s_load_b128 s[16:19], s[0:1], 0x28
	v_lshrrev_b32_e32 v1, 5, v0
	v_mov_b32_e32 v21, 0
	s_mov_b32 s2, exec_lo
	s_delay_alu instid0(VALU_DEP_2) | instskip(NEXT) | instid1(VALU_DEP_2)
	v_lshl_or_b32 v57, ttmp9, 1, v1
	v_mov_b32_e32 v58, v21
	s_wait_kmcnt 0x0
	s_delay_alu instid0(VALU_DEP_1)
	v_cmpx_gt_u64_e64 s[16:17], v[57:58]
	s_cbranch_execz .LBB0_18
; %bb.1:
	s_clause 0x1
	s_load_b128 s[4:7], s[0:1], 0x18
	s_load_b128 s[8:11], s[0:1], 0x0
	v_and_b32_e32 v100, 31, v0
	s_delay_alu instid0(VALU_DEP_1)
	v_lshlrev_b32_e32 v56, 3, v100
	s_wait_kmcnt 0x0
	s_load_b128 s[12:15], s[4:5], 0x0
	s_clause 0x8
	global_load_b64 v[58:59], v56, s[8:9]
	global_load_b64 v[60:61], v56, s[8:9] offset:256
	global_load_b64 v[62:63], v56, s[8:9] offset:512
	;; [unrolled: 1-line block ×8, first 2 shown]
	s_wait_kmcnt 0x0
	v_mad_co_u64_u32 v[1:2], null, s14, v57, 0
	v_mad_co_u64_u32 v[3:4], null, s12, v100, 0
	s_lshl_b64 s[2:3], s[12:13], 8
	s_delay_alu instid0(VALU_DEP_1) | instskip(NEXT) | instid1(VALU_DEP_1)
	v_mad_co_u64_u32 v[5:6], null, s15, v57, v[2:3]
	v_mad_co_u64_u32 v[6:7], null, s13, v100, v[4:5]
	v_mov_b32_e32 v2, v5
	s_delay_alu instid0(VALU_DEP_1) | instskip(NEXT) | instid1(VALU_DEP_3)
	v_lshlrev_b64_e32 v[1:2], 3, v[1:2]
	v_mov_b32_e32 v4, v6
	s_delay_alu instid0(VALU_DEP_2) | instskip(NEXT) | instid1(VALU_DEP_2)
	v_add_co_u32 v1, vcc_lo, s18, v1
	v_lshlrev_b64_e32 v[3:4], 3, v[3:4]
	s_delay_alu instid0(VALU_DEP_4) | instskip(NEXT) | instid1(VALU_DEP_2)
	v_add_co_ci_u32_e32 v2, vcc_lo, s19, v2, vcc_lo
	v_add_co_u32 v1, vcc_lo, v1, v3
	s_wait_alu 0xfffd
	s_delay_alu instid0(VALU_DEP_2) | instskip(NEXT) | instid1(VALU_DEP_2)
	v_add_co_ci_u32_e32 v2, vcc_lo, v2, v4, vcc_lo
	v_add_co_u32 v3, vcc_lo, v1, s2
	s_wait_alu 0xfffd
	s_delay_alu instid0(VALU_DEP_2)
	v_add_co_ci_u32_e32 v4, vcc_lo, s3, v2, vcc_lo
	global_load_b64 v[1:2], v[1:2], off
	v_add_co_u32 v5, vcc_lo, v3, s2
	s_wait_alu 0xfffd
	v_add_co_ci_u32_e32 v6, vcc_lo, s3, v4, vcc_lo
	global_load_b64 v[3:4], v[3:4], off
	v_add_co_u32 v7, vcc_lo, v5, s2
	s_wait_alu 0xfffd
	v_add_co_ci_u32_e32 v8, vcc_lo, s3, v6, vcc_lo
	s_delay_alu instid0(VALU_DEP_2) | instskip(SKIP_1) | instid1(VALU_DEP_2)
	v_add_co_u32 v9, vcc_lo, v7, s2
	s_wait_alu 0xfffd
	v_add_co_ci_u32_e32 v10, vcc_lo, s3, v8, vcc_lo
	s_delay_alu instid0(VALU_DEP_2) | instskip(SKIP_1) | instid1(VALU_DEP_2)
	v_add_co_u32 v11, vcc_lo, v9, s2
	s_wait_alu 0xfffd
	v_add_co_ci_u32_e32 v12, vcc_lo, s3, v10, vcc_lo
	s_clause 0x2
	global_load_b64 v[5:6], v[5:6], off
	global_load_b64 v[7:8], v[7:8], off
	;; [unrolled: 1-line block ×3, first 2 shown]
	v_add_co_u32 v13, vcc_lo, v11, s2
	s_wait_alu 0xfffd
	v_add_co_ci_u32_e32 v14, vcc_lo, s3, v12, vcc_lo
	global_load_b64 v[11:12], v[11:12], off
	v_add_co_u32 v15, vcc_lo, v13, s2
	s_wait_alu 0xfffd
	v_add_co_ci_u32_e32 v16, vcc_lo, s3, v14, vcc_lo
	global_load_b64 v[13:14], v[13:14], off
	;; [unrolled: 4-line block ×5, first 2 shown]
	s_clause 0x1
	global_load_b64 v[76:77], v56, s[8:9] offset:2304
	global_load_b64 v[78:79], v56, s[8:9] offset:2560
	global_load_b64 v[22:23], v[22:23], off
	v_and_b32_e32 v0, 32, v0
	s_load_b128 s[4:7], s[6:7], 0x0
	s_load_b64 s[2:3], s[0:1], 0x38
	s_delay_alu instid0(VALU_DEP_1)
	v_cmp_ne_u32_e32 vcc_lo, 0, v0
	s_wait_alu 0xfffd
	v_cndmask_b32_e64 v104, 0, 0x160, vcc_lo
	s_wait_loadcnt 0xc
	v_mul_f32_e32 v0, v2, v59
	v_mul_f32_e32 v25, v1, v59
	s_delay_alu instid0(VALU_DEP_3) | instskip(NEXT) | instid1(VALU_DEP_3)
	v_or_b32_e32 v24, v104, v100
	v_fmac_f32_e32 v0, v1, v58
	s_delay_alu instid0(VALU_DEP_3) | instskip(NEXT) | instid1(VALU_DEP_3)
	v_fma_f32 v1, v2, v58, -v25
	v_lshlrev_b32_e32 v102, 3, v24
	s_wait_loadcnt 0xb
	v_mul_f32_e32 v2, v4, v61
	v_mul_f32_e32 v25, v3, v61
	ds_store_b64 v102, v[0:1]
	v_fmac_f32_e32 v2, v3, v60
	v_fma_f32 v3, v4, v60, -v25
	s_wait_loadcnt 0xa
	v_mul_f32_e32 v0, v6, v63
	s_wait_loadcnt 0x9
	v_dual_mul_f32 v1, v5, v63 :: v_dual_mul_f32 v24, v8, v65
	v_lshl_or_b32 v101, v104, 3, v56
	s_wait_loadcnt 0x8
	v_mul_f32_e32 v4, v10, v67
	v_dual_fmac_f32 v0, v5, v62 :: v_dual_mul_f32 v5, v7, v65
	v_fma_f32 v1, v6, v62, -v1
	v_dual_fmac_f32 v24, v7, v64 :: v_dual_mul_f32 v7, v9, v67
	s_wait_loadcnt 0x7
	v_mul_f32_e32 v6, v12, v69
	v_mul_f32_e32 v28, v11, v69
	v_fma_f32 v25, v8, v64, -v5
	s_wait_loadcnt 0x6
	v_mul_f32_e32 v8, v14, v71
	v_add_nc_u32_e32 v26, 0x400, v101
	v_fmac_f32_e32 v4, v9, v66
	v_fma_f32 v5, v10, v66, -v7
	v_fmac_f32_e32 v6, v11, v68
	v_fma_f32 v7, v12, v68, -v28
	v_mul_f32_e32 v9, v13, v71
	s_wait_loadcnt 0x5
	v_mul_f32_e32 v10, v16, v75
	s_wait_loadcnt 0x4
	v_dual_mul_f32 v11, v15, v75 :: v_dual_mul_f32 v12, v18, v73
	v_fmac_f32_e32 v8, v13, v70
	v_mul_f32_e32 v13, v17, v73
	v_fma_f32 v9, v14, v70, -v9
	v_fmac_f32_e32 v10, v15, v74
	v_fma_f32 v11, v16, v74, -v11
	v_fmac_f32_e32 v12, v17, v72
	s_wait_loadcnt 0x2
	v_mul_f32_e32 v14, v20, v77
	v_mul_f32_e32 v15, v19, v77
	s_wait_loadcnt 0x0
	v_mul_f32_e32 v16, v23, v79
	v_mul_f32_e32 v17, v22, v79
	v_add_nc_u32_e32 v27, 0x800, v101
	v_fma_f32 v13, v18, v72, -v13
	v_fmac_f32_e32 v14, v19, v76
	v_fma_f32 v15, v20, v76, -v15
	v_fmac_f32_e32 v16, v22, v78
	v_fma_f32 v17, v23, v78, -v17
	ds_store_2addr_b64 v101, v[2:3], v[0:1] offset0:32 offset1:64
	ds_store_2addr_b64 v101, v[24:25], v[4:5] offset0:96 offset1:128
	;; [unrolled: 1-line block ×5, first 2 shown]
	global_wb scope:SCOPE_SE
	s_wait_dscnt 0x0
	s_wait_kmcnt 0x0
	s_barrier_signal -1
	s_barrier_wait -1
	global_inv scope:SCOPE_SE
	ds_load_b64 v[8:9], v102
	ds_load_2addr_b64 v[4:7], v101 offset0:32 offset1:64
	ds_load_2addr_b64 v[0:3], v27 offset0:32 offset1:64
	;; [unrolled: 1-line block ×5, first 2 shown]
	v_mul_u32_u24_e32 v18, 11, v100
	global_wb scope:SCOPE_SE
	s_wait_dscnt 0x0
	s_barrier_signal -1
	s_barrier_wait -1
	global_inv scope:SCOPE_SE
	v_add_lshl_u32 v103, v104, v18, 3
	v_add_f32_e32 v19, v9, v5
	v_dual_add_f32 v27, v3, v5 :: v_dual_sub_f32 v34, v10, v16
	v_dual_sub_f32 v5, v5, v3 :: v_dual_sub_f32 v30, v6, v0
	v_sub_f32_e32 v35, v11, v17
	v_add_f32_e32 v29, v1, v7
	s_delay_alu instid0(VALU_DEP_4) | instskip(NEXT) | instid1(VALU_DEP_4)
	v_dual_mul_f32 v83, 0xbf7d64f0, v34 :: v_dual_add_f32 v18, v8, v4
	v_dual_mul_f32 v53, 0xbf4178ce, v30 :: v_dual_add_f32 v20, v2, v4
	v_mul_f32_e32 v55, 0x3e903f40, v30
	v_dual_sub_f32 v4, v4, v2 :: v_dual_sub_f32 v31, v7, v1
	v_dual_sub_f32 v39, v13, v15 :: v_dual_add_f32 v28, v0, v6
	v_dual_sub_f32 v43, v23, v25 :: v_dual_add_f32 v6, v18, v6
	v_add_f32_e32 v7, v19, v7
	v_mul_f32_e32 v81, 0x3f7d64f0, v30
	v_dual_mul_f32 v18, 0xbf0a6770, v5 :: v_dual_mul_f32 v89, 0xbf0a6770, v34
	v_mul_f32_e32 v82, 0xbf7d64f0, v35
	v_mul_f32_e32 v84, 0x3e903f40, v35
	;; [unrolled: 1-line block ×5, first 2 shown]
	v_dual_mul_f32 v19, 0xbf0a6770, v4 :: v_dual_add_f32 v32, v16, v10
	v_mul_f32_e32 v93, 0xbe903f40, v39
	v_dual_add_f32 v33, v17, v11 :: v_dual_sub_f32 v42, v22, v24
	v_mul_f32_e32 v87, 0x3f68dda4, v34
	v_dual_mul_f32 v44, 0xbf68dda4, v5 :: v_dual_add_f32 v7, v7, v11
	v_mul_f32_e32 v46, 0xbf7d64f0, v5
	s_delay_alu instid0(VALU_DEP_4)
	v_dual_mul_f32 v48, 0xbf4178ce, v5 :: v_dual_mul_f32 v109, 0xbf4178ce, v42
	v_mul_f32_e32 v5, 0xbe903f40, v5
	v_dual_mul_f32 v105, 0xbf4178ce, v43 :: v_dual_add_f32 v6, v6, v10
	v_fmamk_f32 v11, v27, 0x3f575c64, v19
	v_fma_f32 v10, 0x3f575c64, v20, -v18
	v_fma_f32 v19, 0x3f575c64, v27, -v19
	v_dual_add_f32 v36, v14, v12 :: v_dual_mul_f32 v85, 0x3e903f40, v34
	v_dual_add_f32 v37, v15, v13 :: v_dual_sub_f32 v38, v12, v14
	v_mul_f32_e32 v45, 0xbf68dda4, v4
	v_mul_f32_e32 v47, 0xbf7d64f0, v4
	;; [unrolled: 1-line block ×3, first 2 shown]
	v_dual_mul_f32 v50, 0xbf68dda4, v31 :: v_dual_add_f32 v7, v7, v13
	v_mul_f32_e32 v51, 0xbf68dda4, v30
	v_dual_mul_f32 v34, 0xbf4178ce, v34 :: v_dual_add_f32 v13, v9, v19
	v_mul_f32_e32 v91, 0x3f7d64f0, v39
	v_mul_f32_e32 v92, 0xbf0a6770, v39
	v_fma_f32 v117, 0xbf75a155, v20, -v5
	v_dual_fmac_f32 v5, 0xbf75a155, v20 :: v_dual_add_f32 v10, v8, v10
	v_mul_f32_e32 v90, 0xbf4178ce, v39
	v_mul_f32_e32 v39, 0x3f68dda4, v39
	v_dual_mul_f32 v4, 0xbe903f40, v4 :: v_dual_mul_f32 v97, 0xbe903f40, v38
	v_add_f32_e32 v41, v25, v23
	v_dual_mul_f32 v80, 0x3f7d64f0, v31 :: v_dual_mul_f32 v95, 0x3f7d64f0, v38
	v_dual_mul_f32 v30, 0x3f0a6770, v30 :: v_dual_add_f32 v11, v9, v11
	v_dual_mul_f32 v96, 0xbf0a6770, v38 :: v_dual_add_f32 v7, v7, v23
	v_fma_f32 v111, 0x3ed4b147, v20, -v44
	v_fmamk_f32 v112, v27, 0x3ed4b147, v45
	v_fmac_f32_e32 v44, 0x3ed4b147, v20
	v_fma_f32 v45, 0x3ed4b147, v27, -v45
	v_fmamk_f32 v114, v27, 0xbe11bafb, v47
	v_fma_f32 v47, 0xbe11bafb, v27, -v47
	v_mul_f32_e32 v94, 0xbf4178ce, v38
	v_fmamk_f32 v118, v27, 0xbf75a155, v4
	v_fma_f32 v4, 0xbf75a155, v27, -v4
	v_fmamk_f32 v132, v33, 0x3f575c64, v89
	v_fmamk_f32 v126, v33, 0xbe11bafb, v83
	v_fmamk_f32 v116, v27, 0xbf27a4f4, v49
	v_fma_f32 v49, 0xbf27a4f4, v27, -v49
	v_fmamk_f32 v27, v29, 0x3ed4b147, v51
	v_mul_f32_e32 v38, 0x3f68dda4, v38
	v_dual_add_f32 v40, v24, v22 :: v_dual_mul_f32 v99, 0x3f0a6770, v43
	v_dual_mul_f32 v98, 0xbe903f40, v43 :: v_dual_mul_f32 v107, 0xbe903f40, v42
	v_dual_fmamk_f32 v120, v29, 0xbf27a4f4, v53 :: v_dual_add_f32 v7, v7, v25
	v_fma_f32 v53, 0xbf27a4f4, v29, -v53
	v_mul_f32_e32 v106, 0x3f68dda4, v43
	v_mul_f32_e32 v43, 0xbf7d64f0, v43
	v_fma_f32 v113, 0xbe11bafb, v20, -v46
	v_mul_f32_e32 v54, 0x3e903f40, v31
	v_fmamk_f32 v141, v37, 0x3ed4b147, v38
	v_dual_mul_f32 v52, 0xbf4178ce, v31 :: v_dual_add_f32 v19, v9, v112
	v_dual_mul_f32 v31, 0x3f0a6770, v31 :: v_dual_mul_f32 v108, 0x3f0a6770, v42
	v_fma_f32 v115, 0xbf27a4f4, v20, -v48
	v_dual_add_f32 v5, v8, v5 :: v_dual_fmac_f32 v48, 0xbf27a4f4, v20
	v_fmamk_f32 v147, v41, 0xbf27a4f4, v109
	s_delay_alu instid0(VALU_DEP_4)
	v_fma_f32 v125, 0x3f575c64, v28, -v31
	v_fmac_f32_e32 v46, 0xbe11bafb, v20
	v_fmac_f32_e32 v31, 0x3f575c64, v28
	v_fma_f32 v119, 0xbf27a4f4, v28, -v52
	v_fma_f32 v121, 0xbf75a155, v28, -v54
	;; [unrolled: 1-line block ×4, first 2 shown]
	v_fmac_f32_e32 v52, 0xbf27a4f4, v28
	v_fma_f32 v133, 0xbf27a4f4, v32, -v35
	v_fmac_f32_e32 v35, 0xbf27a4f4, v32
	v_fmamk_f32 v128, v33, 0xbf75a155, v85
	v_fma_f32 v85, 0xbf75a155, v33, -v85
	v_fmac_f32_e32 v54, 0xbf75a155, v28
	v_fma_f32 v136, 0xbf75a155, v36, -v93
	v_fmac_f32_e32 v93, 0xbf75a155, v36
	v_fma_f32 v142, 0x3f575c64, v40, -v99
	v_dual_fmac_f32 v99, 0x3f575c64, v40 :: v_dual_fmamk_f32 v146, v41, 0x3f575c64, v108
	v_add_f32_e32 v46, v8, v46
	v_fmac_f32_e32 v18, 0x3f575c64, v20
	v_fma_f32 v20, 0x3ed4b147, v28, -v50
	v_fmac_f32_e32 v50, 0x3ed4b147, v28
	v_dual_add_f32 v112, v8, v115 :: v_dual_add_f32 v115, v9, v118
	v_fma_f32 v131, 0x3f575c64, v32, -v88
	v_fmac_f32_e32 v80, 0xbe11bafb, v28
	v_dual_fmamk_f32 v28, v29, 0x3f575c64, v30 :: v_dual_add_f32 v5, v31, v5
	v_dual_fmamk_f32 v139, v37, 0x3f575c64, v96 :: v_dual_add_f32 v6, v6, v12
	v_dual_add_f32 v47, v9, v47 :: v_dual_add_f32 v48, v8, v48
	s_delay_alu instid0(VALU_DEP_3)
	v_dual_add_f32 v5, v35, v5 :: v_dual_fmamk_f32 v122, v29, 0xbf75a155, v55
	v_fma_f32 v55, 0xbf75a155, v29, -v55
	v_mul_f32_e32 v110, 0x3f68dda4, v42
	v_mul_f32_e32 v42, 0xbf7d64f0, v42
	v_fma_f32 v51, 0x3ed4b147, v29, -v51
	v_fma_f32 v127, 0xbf75a155, v32, -v84
	v_fmac_f32_e32 v84, 0xbf75a155, v32
	v_dual_fmamk_f32 v130, v33, 0x3ed4b147, v87 :: v_dual_add_f32 v7, v7, v15
	v_fma_f32 v87, 0x3ed4b147, v33, -v87
	v_fma_f32 v89, 0x3f575c64, v33, -v89
	;; [unrolled: 1-line block ×4, first 2 shown]
	v_fmac_f32_e32 v92, 0x3f575c64, v36
	v_fma_f32 v137, 0x3ed4b147, v36, -v39
	v_dual_fmac_f32 v39, 0x3ed4b147, v36 :: v_dual_fmamk_f32 v148, v41, 0x3ed4b147, v110
	v_fma_f32 v96, 0x3f575c64, v37, -v96
	v_fmamk_f32 v140, v37, 0xbf75a155, v97
	v_fmamk_f32 v138, v37, 0xbe11bafb, v95
	v_fmac_f32_e32 v88, 0x3f575c64, v32
	v_fma_f32 v95, 0xbe11bafb, v37, -v95
	v_fma_f32 v97, 0xbf75a155, v37, -v97
	;; [unrolled: 1-line block ×3, first 2 shown]
	v_fmac_f32_e32 v105, 0xbf27a4f4, v40
	v_fma_f32 v144, 0x3ed4b147, v40, -v106
	v_fmac_f32_e32 v106, 0x3ed4b147, v40
	v_fma_f32 v145, 0xbe11bafb, v40, -v43
	;; [unrolled: 2-line block ×3, first 2 shown]
	v_fma_f32 v109, 0xbf27a4f4, v41, -v109
	v_fma_f32 v110, 0x3ed4b147, v41, -v110
	v_fmamk_f32 v149, v41, 0xbe11bafb, v42
	v_add_f32_e32 v49, v9, v49
	v_fma_f32 v129, 0x3ed4b147, v32, -v86
	v_fmac_f32_e32 v86, 0x3ed4b147, v32
	v_add_f32_e32 v6, v6, v22
	v_dual_add_f32 v23, v54, v46 :: v_dual_fmamk_f32 v124, v29, 0xbe11bafb, v81
	v_fma_f32 v81, 0xbe11bafb, v29, -v81
	v_fma_f32 v29, 0x3f575c64, v29, -v30
	v_dual_fmac_f32 v91, 0xbe11bafb, v36 :: v_dual_add_f32 v12, v8, v18
	v_dual_add_f32 v18, v8, v111 :: v_dual_add_f32 v111, v9, v114
	v_fma_f32 v30, 0xbe11bafb, v32, -v82
	v_fmac_f32_e32 v82, 0xbe11bafb, v32
	v_fmamk_f32 v32, v33, 0xbf27a4f4, v34
	v_fma_f32 v33, 0xbf27a4f4, v33, -v34
	v_fma_f32 v34, 0xbf27a4f4, v36, -v90
	v_fmac_f32_e32 v90, 0xbf27a4f4, v36
	v_fmamk_f32 v36, v37, 0xbf27a4f4, v94
	v_fma_f32 v94, 0xbf27a4f4, v37, -v94
	v_fma_f32 v37, 0x3ed4b147, v37, -v38
	;; [unrolled: 1-line block ×3, first 2 shown]
	v_fmac_f32_e32 v98, 0xbf75a155, v40
	v_fmamk_f32 v40, v41, 0xbf75a155, v107
	v_fma_f32 v107, 0xbf75a155, v41, -v107
	v_fma_f32 v41, 0xbe11bafb, v41, -v42
	v_add_f32_e32 v42, v8, v44
	v_add_f32_e32 v44, v9, v45
	;; [unrolled: 1-line block ×4, first 2 shown]
	v_dual_add_f32 v4, v9, v4 :: v_dual_add_f32 v9, v27, v11
	v_add_f32_e32 v27, v55, v47
	v_add_f32_e32 v28, v28, v115
	;; [unrolled: 1-line block ×4, first 2 shown]
	v_dual_add_f32 v13, v120, v19 :: v_dual_add_f32 v4, v29, v4
	v_add_f32_e32 v6, v6, v24
	v_add_f32_e32 v24, v87, v27
	;; [unrolled: 1-line block ×6, first 2 shown]
	v_dual_add_f32 v13, v128, v13 :: v_dual_add_f32 v22, v122, v111
	v_dual_add_f32 v23, v86, v23 :: v_dual_add_f32 v44, v124, v113
	v_add_f32_e32 v4, v33, v4
	v_add_f32_e32 v24, v96, v24
	;; [unrolled: 1-line block ×5, first 2 shown]
	v_dual_add_f32 v33, v7, v17 :: v_dual_add_f32 v10, v50, v12
	v_add_f32_e32 v12, v119, v18
	v_dual_add_f32 v18, v52, v42 :: v_dual_add_f32 v19, v85, v19
	s_delay_alu instid0(VALU_DEP_4) | instskip(SKIP_1) | instid1(VALU_DEP_3)
	v_add_f32_e32 v20, v129, v20
	v_dual_add_f32 v22, v130, v22 :: v_dual_add_f32 v31, v133, v47
	v_dual_add_f32 v18, v84, v18 :: v_dual_add_f32 v11, v94, v11
	;; [unrolled: 1-line block ×3, first 2 shown]
	v_add_f32_e32 v9, v126, v9
	v_add_f32_e32 v6, v6, v14
	s_delay_alu instid0(VALU_DEP_4)
	v_add_f32_e32 v14, v91, v18
	v_add_f32_e32 v15, v95, v19
	;; [unrolled: 1-line block ×3, first 2 shown]
	v_dual_add_f32 v19, v139, v22 :: v_dual_add_f32 v20, v92, v23
	v_add_f32_e32 v23, v140, v27
	v_add_f32_e32 v9, v36, v9
	v_dual_add_f32 v13, v138, v13 :: v_dual_add_f32 v12, v127, v12
	s_delay_alu instid0(VALU_DEP_3) | instskip(SKIP_4) | instid1(VALU_DEP_2)
	v_dual_add_f32 v32, v6, v16 :: v_dual_add_f32 v17, v148, v23
	v_add_f32_e32 v23, v149, v28
	v_add_f32_e32 v8, v30, v8
	;; [unrolled: 1-line block ×4, first 2 shown]
	v_dual_add_f32 v8, v34, v8 :: v_dual_add_f32 v27, v97, v30
	v_add_f32_e32 v30, v39, v5
	v_add_f32_e32 v5, v107, v11
	;; [unrolled: 1-line block ×3, first 2 shown]
	v_dual_add_f32 v9, v146, v13 :: v_dual_add_f32 v42, v123, v112
	v_dual_add_f32 v13, v147, v19 :: v_dual_add_f32 v6, v38, v8
	v_add_f32_e32 v8, v142, v12
	v_add_f32_e32 v12, v143, v18
	s_delay_alu instid0(VALU_DEP_4) | instskip(SKIP_3) | instid1(VALU_DEP_4)
	v_add_f32_e32 v25, v131, v42
	v_add_f32_e32 v45, v80, v48
	;; [unrolled: 1-line block ×4, first 2 shown]
	v_dual_add_f32 v15, v109, v24 :: v_dual_add_f32 v22, v136, v25
	s_delay_alu instid0(VALU_DEP_4) | instskip(NEXT) | instid1(VALU_DEP_1)
	v_add_f32_e32 v29, v88, v45
	v_dual_add_f32 v16, v144, v22 :: v_dual_add_f32 v25, v93, v29
	v_add_f32_e32 v29, v137, v31
	s_delay_alu instid0(VALU_DEP_2) | instskip(SKIP_1) | instid1(VALU_DEP_3)
	v_dual_add_f32 v31, v37, v4 :: v_dual_add_f32 v18, v106, v25
	v_dual_add_f32 v25, v33, v1 :: v_dual_add_f32 v10, v82, v10
	v_add_f32_e32 v22, v145, v29
	s_delay_alu instid0(VALU_DEP_3) | instskip(NEXT) | instid1(VALU_DEP_3)
	v_add_f32_e32 v1, v41, v31
	v_dual_add_f32 v3, v25, v3 :: v_dual_add_f32 v10, v90, v10
	s_delay_alu instid0(VALU_DEP_1) | instskip(SKIP_4) | instid1(VALU_DEP_2)
	v_add_f32_e32 v4, v98, v10
	v_add_f32_e32 v10, v99, v14
	;; [unrolled: 1-line block ×6, first 2 shown]
	ds_store_2addr_b64 v103, v[16:17], v[22:23] offset0:4 offset1:5
	ds_store_2addr_b64 v103, v[0:1], v[18:19] offset0:6 offset1:7
	;; [unrolled: 1-line block ×3, first 2 shown]
	ds_store_b64 v103, v[4:5] offset:80
	ds_store_2addr_b64 v103, v[2:3], v[6:7] offset1:1
	ds_store_2addr_b64 v103, v[8:9], v[12:13] offset0:2 offset1:3
	global_wb scope:SCOPE_SE
	s_wait_dscnt 0x0
	s_barrier_signal -1
	s_barrier_wait -1
	global_inv scope:SCOPE_SE
	ds_load_2addr_b64 v[12:15], v101 offset0:176 offset1:208
	ds_load_2addr_b64 v[8:11], v101 offset0:32 offset1:64
	;; [unrolled: 1-line block ×4, first 2 shown]
	ds_load_b64 v[24:25], v102
	ds_load_b64 v[22:23], v101 offset:2432
	v_or_b32_e32 v20, 0xa0, v100
	s_delay_alu instid0(VALU_DEP_1)
	v_cmp_gt_u64_e32 vcc_lo, 0xb0, v[20:21]
	s_and_saveexec_b32 s0, vcc_lo
	s_cbranch_execz .LBB0_3
; %bb.2:
	ds_load_2addr_b64 v[4:7], v26 offset0:32 offset1:208
.LBB0_3:
	s_wait_alu 0xfffe
	s_or_b32 exec_lo, exec_lo, s0
	v_mul_lo_u16 v21, v100, 24
	v_or_b32_e32 v26, 32, v100
	v_or_b32_e32 v27, 64, v100
	;; [unrolled: 1-line block ×4, first 2 shown]
	v_lshrrev_b16 v21, 8, v21
	v_mul_lo_u16 v31, v26, 47
	v_mul_lo_u16 v33, 0xbb, v27
	;; [unrolled: 1-line block ×5, first 2 shown]
	v_lshrrev_b16 v31, 9, v31
	v_lshrrev_b16 v33, 11, v33
	v_mul_lo_u16 v35, 0xbb, v29
	v_lshrrev_b16 v32, 8, v32
	v_sub_nc_u16 v34, v100, v34
	v_mul_lo_u16 v37, v31, 11
	v_mul_lo_u16 v40, v33, 11
	v_lshrrev_b16 v30, 8, v30
	v_lshrrev_b16 v35, 11, v35
	v_and_b32_e32 v38, 0xff, v34
	v_sub_nc_u16 v36, v28, v32
	v_sub_nc_u16 v26, v26, v37
	;; [unrolled: 1-line block ×4, first 2 shown]
	v_lshlrev_b32_e32 v37, 3, v38
	v_lshrrev_b16 v36, 1, v36
	v_mul_lo_u16 v38, v35, 11
	v_and_b32_e32 v40, 0xff, v26
	v_lshrrev_b16 v39, 1, v39
	global_load_b64 v[88:89], v37, s[10:11]
	v_and_b32_e32 v27, 0xff, v27
	v_and_b32_e32 v36, 0x7f, v36
	v_sub_nc_u16 v29, v29, v38
	v_mad_u16 v26, v31, 22, v26
	v_mad_u16 v21, v21, 22, v34
	v_lshlrev_b32_e32 v38, 3, v27
	v_add_nc_u16 v32, v36, v32
	v_and_b32_e32 v29, 0xff, v29
	v_and_b32_e32 v26, 0xff, v26
	;; [unrolled: 1-line block ×3, first 2 shown]
	global_load_b64 v[84:85], v38, s[10:11]
	v_and_b32_e32 v36, 0x7f, v39
	v_lshrrev_b16 v32, 3, v32
	v_add_lshl_u32 v108, v104, v26, 3
	v_add_lshl_u32 v109, v104, v21, 3
	s_delay_alu instid0(VALU_DEP_4) | instskip(SKIP_1) | instid1(VALU_DEP_2)
	v_add_nc_u16 v30, v36, v30
	v_lshlrev_b32_e32 v36, 3, v29
	v_lshrrev_b16 v46, 3, v30
	global_load_b64 v[86:87], v36, s[10:11]
	v_lshlrev_b32_e32 v37, 3, v40
	v_mul_lo_u16 v36, v46, 11
	v_and_b32_e32 v110, 0xffff, v46
	global_load_b64 v[90:91], v37, s[10:11]
	v_sub_nc_u16 v20, v20, v36
	s_wait_loadcnt_dscnt 0x305
	v_mul_f32_e32 v26, v12, v89
	v_mul_f32_e32 v21, v13, v89
	s_delay_alu instid0(VALU_DEP_2) | instskip(SKIP_1) | instid1(VALU_DEP_3)
	v_fmac_f32_e32 v26, v13, v88
	v_and_b32_e32 v32, 31, v32
	v_fma_f32 v12, v12, v88, -v21
	s_delay_alu instid0(VALU_DEP_2) | instskip(NEXT) | instid1(VALU_DEP_1)
	v_mul_lo_u16 v30, v32, 11
	v_sub_nc_u16 v28, v28, v30
	s_wait_loadcnt_dscnt 0x103
	v_dual_mul_f32 v34, v18, v87 :: v_dual_and_b32 v105, 0xff, v20
	s_wait_loadcnt 0x0
	s_delay_alu instid0(VALU_DEP_1) | instskip(NEXT) | instid1(VALU_DEP_2)
	v_dual_fmac_f32 v34, v19, v86 :: v_dual_mul_f32 v21, v14, v91
	v_dual_mul_f32 v13, v15, v91 :: v_dual_lshlrev_b32 v30, 3, v105
	s_wait_dscnt 0x2
	s_delay_alu instid0(VALU_DEP_2) | instskip(NEXT) | instid1(VALU_DEP_3)
	v_sub_f32_e32 v37, v1, v34
	v_dual_fmac_f32 v21, v15, v90 :: v_dual_and_b32 v28, 0xff, v28
	s_delay_alu instid0(VALU_DEP_3) | instskip(SKIP_1) | instid1(VALU_DEP_4)
	v_fma_f32 v13, v14, v90, -v13
	v_and_b32_e32 v31, 0xffff, v32
	v_fma_f32 v43, v1, 2.0, -v37
	s_delay_alu instid0(VALU_DEP_4)
	v_lshlrev_b32_e32 v20, 3, v28
	s_clause 0x1
	global_load_b64 v[82:83], v20, s[10:11]
	global_load_b64 v[80:81], v30, s[10:11]
	v_and_b32_e32 v20, 0xffff, v33
	v_and_b32_e32 v30, 0xffff, v35
	v_sub_f32_e32 v32, v8, v13
	v_sub_f32_e32 v33, v9, v21
	global_wb scope:SCOPE_SE
	s_wait_loadcnt_dscnt 0x0
	v_mul_u32_u24_e32 v20, 22, v20
	v_mul_u32_u24_e32 v30, 22, v30
	s_barrier_signal -1
	s_barrier_wait -1
	global_inv scope:SCOPE_SE
	v_add_nc_u32_e32 v20, v20, v27
	v_add_nc_u32_e32 v27, v30, v29
	v_mul_f32_e32 v30, v16, v85
	v_mul_u32_u24_e32 v29, 22, v31
	v_mul_f32_e32 v31, v19, v87
	v_add_lshl_u32 v107, v104, v20, 3
	s_delay_alu instid0(VALU_DEP_4) | instskip(SKIP_3) | instid1(VALU_DEP_4)
	v_fmac_f32_e32 v30, v17, v84
	v_add_lshl_u32 v106, v104, v27, 3
	v_mul_f32_e32 v27, v17, v85
	v_add_nc_u32_e32 v20, v29, v28
	v_dual_sub_f32 v28, v24, v12 :: v_dual_sub_f32 v41, v11, v30
	v_fma_f32 v12, v18, v86, -v31
	s_delay_alu instid0(VALU_DEP_4)
	v_fma_f32 v14, v16, v84, -v27
	v_fma_f32 v30, v8, 2.0, -v32
	v_fma_f32 v31, v9, 2.0, -v33
	;; [unrolled: 1-line block ×3, first 2 shown]
	v_dual_sub_f32 v36, v0, v12 :: v_dual_sub_f32 v29, v25, v26
	v_fma_f32 v94, v24, 2.0, -v28
	s_delay_alu instid0(VALU_DEP_2) | instskip(NEXT) | instid1(VALU_DEP_3)
	v_fma_f32 v42, v0, 2.0, -v36
	v_fma_f32 v95, v25, 2.0, -v29
	ds_store_2addr_b64 v109, v[94:95], v[28:29] offset1:11
	v_dual_mul_f32 v8, v23, v83 :: v_dual_mul_f32 v11, v6, v81
	v_mul_f32_e32 v9, v22, v83
	s_delay_alu instid0(VALU_DEP_2) | instskip(NEXT) | instid1(VALU_DEP_3)
	v_fma_f32 v0, v22, v82, -v8
	v_dual_fmac_f32 v11, v7, v80 :: v_dual_sub_f32 v40, v10, v14
	s_delay_alu instid0(VALU_DEP_2) | instskip(NEXT) | instid1(VALU_DEP_2)
	v_dual_fmac_f32 v9, v23, v82 :: v_dual_sub_f32 v48, v2, v0
	v_sub_f32_e32 v45, v5, v11
	s_delay_alu instid0(VALU_DEP_3) | instskip(SKIP_1) | instid1(VALU_DEP_4)
	v_fma_f32 v34, v10, 2.0, -v40
	v_mul_f32_e32 v10, v7, v81
	v_sub_f32_e32 v49, v3, v9
	v_fma_f32 v38, v2, 2.0, -v48
	v_fma_f32 v51, v5, 2.0, -v45
	v_add_lshl_u32 v111, v104, v20, 3
	v_fma_f32 v6, v6, v80, -v10
	v_fma_f32 v39, v3, 2.0, -v49
	ds_store_2addr_b64 v108, v[30:31], v[32:33] offset1:11
	ds_store_2addr_b64 v107, v[34:35], v[40:41] offset1:11
	;; [unrolled: 1-line block ×4, first 2 shown]
	v_sub_f32_e32 v44, v4, v6
	s_delay_alu instid0(VALU_DEP_1)
	v_fma_f32 v50, v4, 2.0, -v44
	s_and_saveexec_b32 s0, vcc_lo
	s_cbranch_execz .LBB0_5
; %bb.4:
	v_mul_u32_u24_e32 v0, 22, v110
	s_delay_alu instid0(VALU_DEP_1) | instskip(NEXT) | instid1(VALU_DEP_1)
	v_add_nc_u32_e32 v0, v0, v105
	v_add_lshl_u32 v0, v104, v0, 3
	ds_store_2addr_b64 v0, v[50:51], v[44:45] offset1:11
.LBB0_5:
	s_wait_alu 0xfffe
	s_or_b32 exec_lo, exec_lo, s0
	v_add_co_u32 v96, s0, s8, v56
	s_wait_alu 0xf1ff
	v_add_co_ci_u32_e64 v97, null, s9, 0, s0
	v_cmp_gt_u32_e64 s0, 22, v100
	global_wb scope:SCOPE_SE
	s_wait_dscnt 0x0
	s_barrier_signal -1
	s_barrier_wait -1
	global_inv scope:SCOPE_SE
                                        ; implicit-def: $vgpr98
                                        ; implicit-def: $vgpr54
	s_and_saveexec_b32 s1, s0
	s_cbranch_execz .LBB0_7
; %bb.6:
	v_add_nc_u32_e32 v0, 0x400, v101
	v_add_nc_u32_e32 v1, 0x800, v101
	ds_load_2addr_b64 v[28:31], v101 offset0:22 offset1:44
	ds_load_2addr_b64 v[32:35], v101 offset0:66 offset1:88
	;; [unrolled: 1-line block ×7, first 2 shown]
	ds_load_b64 v[94:95], v102
	ds_load_b64 v[98:99], v101 offset:2640
.LBB0_7:
	s_wait_alu 0xfffe
	s_or_b32 exec_lo, exec_lo, s1
	v_subrev_nc_u32_e32 v0, 22, v100
	s_delay_alu instid0(VALU_DEP_1) | instskip(NEXT) | instid1(VALU_DEP_1)
	v_cndmask_b32_e64 v0, v0, v100, s0
	v_mul_i32_i24_e32 v1, 0x78, v0
	v_mul_hi_i32_i24_e32 v0, 0x78, v0
	s_delay_alu instid0(VALU_DEP_2) | instskip(SKIP_1) | instid1(VALU_DEP_2)
	v_add_co_u32 v92, s1, s10, v1
	s_wait_alu 0xf1ff
	v_add_co_ci_u32_e64 v93, s1, s11, v0, s1
	s_clause 0x7
	global_load_b128 v[8:11], v[92:93], off offset:88
	global_load_b128 v[4:7], v[92:93], off offset:104
	;; [unrolled: 1-line block ×7, first 2 shown]
	global_load_b64 v[92:93], v[92:93], off offset:200
	s_wait_loadcnt_dscnt 0x708
	v_dual_mul_f32 v112, v29, v9 :: v_dual_mul_f32 v115, v30, v11
	v_dual_mul_f32 v113, v28, v9 :: v_dual_mul_f32 v114, v31, v11
	s_wait_loadcnt_dscnt 0x607
	v_dual_mul_f32 v116, v33, v5 :: v_dual_mul_f32 v119, v34, v7
	v_dual_mul_f32 v117, v32, v5 :: v_dual_mul_f32 v118, v35, v7
	s_wait_loadcnt_dscnt 0x506
	v_dual_mul_f32 v120, v41, v13 :: v_dual_mul_f32 v123, v42, v15
	s_wait_loadcnt_dscnt 0x405
	;; [unrolled: 2-line block ×3, first 2 shown]
	v_dual_mul_f32 v128, v49, v21 :: v_dual_mul_f32 v131, v50, v23
	v_dual_mul_f32 v129, v48, v21 :: v_dual_mul_f32 v130, v51, v23
	s_wait_loadcnt_dscnt 0x102
	v_dual_mul_f32 v136, v53, v25 :: v_dual_mul_f32 v139, v54, v27
	v_dual_mul_f32 v121, v40, v13 :: v_dual_mul_f32 v122, v43, v15
	;; [unrolled: 1-line block ×4, first 2 shown]
	s_wait_loadcnt_dscnt 0x0
	v_dual_mul_f32 v140, v99, v93 :: v_dual_fmac_f32 v113, v29, v8
	v_fma_f32 v28, v28, v8, -v112
	v_fma_f32 v29, v30, v10, -v114
	;; [unrolled: 1-line block ×4, first 2 shown]
	v_fmac_f32_e32 v129, v49, v20
	v_fmac_f32_e32 v115, v31, v10
	v_fma_f32 v31, v34, v6, -v118
	v_fma_f32 v34, v36, v0, -v124
	;; [unrolled: 1-line block ×3, first 2 shown]
	v_sub_f32_e32 v48, v113, v129
	v_fma_f32 v40, v52, v24, -v136
	v_dual_mul_f32 v133, v44, v17 :: v_dual_mul_f32 v134, v47, v19
	v_fmac_f32_e32 v119, v35, v6
	v_fmac_f32_e32 v135, v47, v18
	v_sub_f32_e32 v47, v28, v36
	v_dual_sub_f32 v36, v32, v40 :: v_dual_mul_f32 v141, v98, v93
	v_fma_f32 v35, v38, v2, -v126
	v_fma_f32 v38, v44, v16, -v132
	v_dual_sub_f32 v44, v119, v135 :: v_dual_mul_f32 v137, v52, v25
	v_mul_f32_e32 v138, v55, v27
	v_fmac_f32_e32 v141, v99, v92
	v_fmac_f32_e32 v131, v51, v22
	;; [unrolled: 1-line block ×3, first 2 shown]
	v_fma_f32 v33, v42, v14, -v122
	v_fma_f32 v42, v98, v92, -v140
	v_fmac_f32_e32 v121, v41, v12
	v_sub_f32_e32 v49, v30, v38
	v_fma_f32 v51, v119, 2.0, -v44
	s_delay_alu instid0(VALU_DEP_4) | instskip(SKIP_3) | instid1(VALU_DEP_4)
	v_dual_fmac_f32 v137, v53, v24 :: v_dual_sub_f32 v38, v34, v42
	v_fmac_f32_e32 v133, v45, v16
	v_fmac_f32_e32 v127, v39, v2
	v_fma_f32 v39, v46, v18, -v134
	v_dual_fmac_f32 v123, v43, v14 :: v_dual_sub_f32 v40, v121, v137
	v_fma_f32 v30, v30, 2.0, -v49
	v_fma_f32 v34, v34, 2.0, -v38
	v_sub_f32_e32 v43, v95, v127
	v_sub_f32_e32 v39, v31, v39
	v_fmac_f32_e32 v125, v37, v0
	v_fma_f32 v37, v50, v22, -v130
	v_fma_f32 v41, v54, v26, -v138
	v_dual_fmac_f32 v139, v55, v26 :: v_dual_add_f32 v120, v48, v36
	v_add_f32_e32 v118, v43, v39
	v_sub_f32_e32 v42, v125, v141
	v_sub_f32_e32 v46, v115, v131
	;; [unrolled: 1-line block ×3, first 2 shown]
	v_fma_f32 v28, v28, 2.0, -v47
	v_fma_f32 v32, v32, 2.0, -v36
	v_sub_f32_e32 v35, v94, v35
	v_fma_f32 v99, v125, 2.0, -v42
	v_fma_f32 v98, v117, 2.0, -v50
	v_dual_sub_f32 v45, v29, v37 :: v_dual_add_f32 v122, v50, v38
	v_sub_f32_e32 v37, v33, v41
	v_sub_f32_e32 v41, v123, v139
	v_fma_f32 v31, v31, 2.0, -v39
	v_fma_f32 v55, v115, 2.0, -v46
	;; [unrolled: 1-line block ×3, first 2 shown]
	v_sub_f32_e32 v115, v35, v44
	v_sub_f32_e32 v44, v28, v32
	v_fma_f32 v53, v94, 2.0, -v35
	v_sub_f32_e32 v32, v30, v34
	v_fma_f32 v54, v95, 2.0, -v43
	;; [unrolled: 2-line block ×3, first 2 shown]
	v_fmamk_f32 v126, v122, 0x3f3504f3, v120
	v_fma_f32 v33, v33, 2.0, -v37
	v_fma_f32 v95, v121, 2.0, -v40
	v_sub_f32_e32 v112, v45, v41
	v_sub_f32_e32 v121, v49, v42
	;; [unrolled: 1-line block ×3, first 2 shown]
	v_dual_sub_f32 v42, v54, v51 :: v_dual_sub_f32 v31, v29, v33
	v_fma_f32 v52, v123, 2.0, -v41
	v_fma_f32 v94, v113, 2.0, -v48
	v_dual_add_f32 v116, v46, v37 :: v_dual_fmamk_f32 v51, v112, 0x3f3504f3, v115
	s_delay_alu instid0(VALU_DEP_4) | instskip(SKIP_1) | instid1(VALU_DEP_3)
	v_dual_add_f32 v114, v42, v31 :: v_dual_sub_f32 v119, v47, v40
	v_fma_f32 v40, v48, 2.0, -v120
	v_fma_f32 v123, v46, 2.0, -v116
	v_sub_f32_e32 v46, v94, v95
	v_fma_f32 v95, v49, 2.0, -v121
	v_dual_sub_f32 v33, v55, v52 :: v_dual_fmamk_f32 v52, v116, 0x3f3504f3, v118
	v_dual_fmac_f32 v51, 0xbf3504f3, v116 :: v_dual_sub_f32 v116, v44, v34
	v_fma_f32 v38, v47, 2.0, -v119
	v_fma_f32 v47, v28, 2.0, -v44
	;; [unrolled: 1-line block ×5, first 2 shown]
	v_fmamk_f32 v98, v95, 0xbf3504f3, v38
	v_fma_f32 v35, v45, 2.0, -v112
	v_fmac_f32_e32 v52, 0x3f3504f3, v112
	v_fmamk_f32 v112, v124, 0xbf3504f3, v40
	v_fma_f32 v37, v43, 2.0, -v118
	v_fmac_f32_e32 v98, 0xbf3504f3, v124
	v_dual_fmamk_f32 v125, v121, 0x3f3504f3, v119 :: v_dual_fmac_f32 v126, 0x3f3504f3, v121
	s_delay_alu instid0(VALU_DEP_4) | instskip(SKIP_2) | instid1(VALU_DEP_4)
	v_fmac_f32_e32 v112, 0x3f3504f3, v95
	v_fma_f32 v48, v54, 2.0, -v42
	v_fma_f32 v50, v55, 2.0, -v33
	v_fmac_f32_e32 v125, 0xbf3504f3, v122
	v_sub_f32_e32 v113, v39, v33
	v_fma_f32 v49, v94, 2.0, -v46
	v_fmamk_f32 v41, v35, 0xbf3504f3, v36
	v_fma_f32 v45, v53, 2.0, -v39
	v_dual_fmamk_f32 v94, v125, 0x3f6c835e, v51 :: v_dual_add_f32 v117, v46, v32
	v_fmamk_f32 v34, v116, 0x3f3504f3, v113
	v_dual_fmamk_f32 v43, v123, 0xbf3504f3, v37 :: v_dual_sub_f32 v54, v48, v50
	v_fma_f32 v29, v29, 2.0, -v31
	s_delay_alu instid0(VALU_DEP_3) | instskip(NEXT) | instid1(VALU_DEP_3)
	v_dual_fmac_f32 v41, 0xbf3504f3, v123 :: v_dual_fmac_f32 v34, 0xbf3504f3, v117
	v_fmac_f32_e32 v43, 0x3f3504f3, v35
	v_fma_f32 v50, v115, 2.0, -v51
	v_fma_f32 v115, v118, 2.0, -v52
	;; [unrolled: 1-line block ×4, first 2 shown]
	v_sub_f32_e32 v53, v45, v29
	v_dual_sub_f32 v55, v47, v28 :: v_dual_fmamk_f32 v32, v98, 0x3ec3ef15, v41
	v_fmamk_f32 v35, v117, 0x3f3504f3, v114
	v_fmamk_f32 v95, v126, 0x3f6c835e, v52
	v_dual_fmamk_f32 v28, v118, 0xbec3ef15, v50 :: v_dual_sub_f32 v99, v49, v30
	v_dual_fmamk_f32 v29, v119, 0xbec3ef15, v115 :: v_dual_fmac_f32 v94, 0xbec3ef15, v126
	v_fmamk_f32 v33, v112, 0x3ec3ef15, v43
	v_dual_add_f32 v31, v54, v55 :: v_dual_fmac_f32 v32, 0xbf6c835e, v112
	v_fmac_f32_e32 v35, 0x3f3504f3, v116
	v_fmac_f32_e32 v28, 0xbf6c835e, v119
	v_dual_sub_f32 v30, v53, v99 :: v_dual_fmac_f32 v29, 0x3f6c835e, v118
	v_fmac_f32_e32 v33, 0x3f6c835e, v98
	v_fmac_f32_e32 v95, 0x3ec3ef15, v125
	s_and_saveexec_b32 s1, s0
	s_cbranch_execz .LBB0_9
; %bb.8:
	v_fma_f32 v42, v42, 2.0, -v114
	v_fma_f32 v119, v46, 2.0, -v117
	;; [unrolled: 1-line block ×8, first 2 shown]
	v_fmamk_f32 v115, v44, 0xbf3504f3, v120
	v_fmamk_f32 v116, v119, 0xbf3504f3, v42
	v_fma_f32 v38, v38, 2.0, -v98
	v_fma_f32 v36, v36, 2.0, -v41
	v_fmamk_f32 v46, v40, 0xbf6c835e, v121
	v_fmac_f32_e32 v115, 0xbf3504f3, v119
	v_fmac_f32_e32 v116, 0x3f3504f3, v44
	v_fma_f32 v44, v49, 2.0, -v99
	v_fma_f32 v49, v45, 2.0, -v53
	v_fmamk_f32 v45, v38, 0xbf6c835e, v36
	v_fmac_f32_e32 v46, 0x3ec3ef15, v38
	v_fma_f32 v118, v114, 2.0, -v35
	v_fma_f32 v117, v113, 2.0, -v34
	v_sub_f32_e32 v47, v49, v47
	v_fma_f32 v39, v42, 2.0, -v116
	v_fma_f32 v42, v48, 2.0, -v54
	v_fmac_f32_e32 v45, 0xbec3ef15, v40
	v_fma_f32 v114, v54, 2.0, -v31
	v_fma_f32 v98, v49, 2.0, -v47
	v_fma_f32 v113, v53, 2.0, -v30
	v_sub_f32_e32 v48, v42, v44
	v_fma_f32 v38, v120, 2.0, -v115
	v_fma_f32 v54, v121, 2.0, -v46
	;; [unrolled: 1-line block ×9, first 2 shown]
	ds_store_b64 v102, v[98:99]
	ds_store_2addr_b64 v101, v[53:54], v[38:39] offset0:22 offset1:44
	ds_store_2addr_b64 v101, v[36:37], v[113:114] offset0:66 offset1:88
	v_add_nc_u32_e32 v36, 0x400, v101
	v_add_nc_u32_e32 v37, 0x800, v101
	ds_store_2addr_b64 v101, v[41:42], v[117:118] offset0:110 offset1:132
	ds_store_2addr_b64 v101, v[51:52], v[47:48] offset0:154 offset1:176
	;; [unrolled: 1-line block ×5, first 2 shown]
	ds_store_b64 v101, v[94:95] offset:2640
.LBB0_9:
	s_wait_alu 0xfffe
	s_or_b32 exec_lo, exec_lo, s1
	global_wb scope:SCOPE_SE
	s_wait_dscnt 0x0
	s_barrier_signal -1
	s_barrier_wait -1
	global_inv scope:SCOPE_SE
	global_load_b64 v[36:37], v[96:97], off offset:2816
	s_add_nc_u64 s[8:9], s[8:9], 0xb00
	s_clause 0x9
	global_load_b64 v[52:53], v56, s[8:9] offset:256
	global_load_b64 v[54:55], v56, s[8:9] offset:512
	;; [unrolled: 1-line block ×10, first 2 shown]
	ds_load_b64 v[38:39], v102
	v_lshlrev_b32_e32 v99, 3, v104
	v_add_nc_u32_e32 v104, 0x800, v101
	s_delay_alu instid0(VALU_DEP_2) | instskip(SKIP_3) | instid1(VALU_DEP_2)
	v_add_nc_u32_e32 v98, v99, v56
	s_wait_loadcnt_dscnt 0xa00
	v_mul_f32_e32 v40, v39, v37
	v_mul_f32_e32 v41, v38, v37
	v_fma_f32 v40, v38, v36, -v40
	s_delay_alu instid0(VALU_DEP_2)
	v_fmac_f32_e32 v41, v39, v36
	ds_store_b64 v102, v[40:41]
	ds_load_2addr_b64 v[36:39], v101 offset0:32 offset1:64
	ds_load_2addr_b64 v[40:43], v101 offset0:96 offset1:128
	ds_load_b64 v[126:127], v98 offset:1280
	ds_load_2addr_b64 v[44:47], v101 offset0:192 offset1:224
	ds_load_2addr_b64 v[48:51], v104 offset1:32
	ds_load_b64 v[128:129], v101 offset:2560
	s_wait_loadcnt_dscnt 0x302
	v_dual_mul_f32 v136, v45, v117 :: v_dual_mul_f32 v137, v47, v119
	v_mul_f32_e32 v130, v37, v53
	v_dual_mul_f32 v56, v36, v53 :: v_dual_mul_f32 v135, v127, v115
	v_dual_mul_f32 v132, v39, v55 :: v_dual_mul_f32 v133, v41, v97
	v_mul_f32_e32 v53, v38, v55
	s_delay_alu instid0(VALU_DEP_3)
	v_dual_mul_f32 v131, v40, v97 :: v_dual_fmac_f32 v56, v37, v52
	v_mul_f32_e32 v134, v43, v113
	v_mul_f32_e32 v97, v42, v113
	;; [unrolled: 1-line block ×4, first 2 shown]
	s_wait_loadcnt_dscnt 0x201
	v_dual_mul_f32 v117, v46, v119 :: v_dual_mul_f32 v138, v49, v121
	v_mul_f32_e32 v119, v48, v121
	s_wait_loadcnt_dscnt 0x0
	v_dual_mul_f32 v139, v51, v123 :: v_dual_mul_f32 v140, v129, v125
	v_mul_f32_e32 v121, v50, v123
	v_mul_f32_e32 v123, v128, v125
	v_fma_f32 v55, v36, v52, -v130
	v_fma_f32 v52, v38, v54, -v132
	v_fmac_f32_e32 v53, v39, v54
	v_fma_f32 v130, v40, v96, -v133
	v_fmac_f32_e32 v131, v41, v96
	v_fma_f32 v96, v42, v112, -v134
	v_fmac_f32_e32 v97, v43, v112
	v_fma_f32 v112, v126, v114, -v135
	v_fmac_f32_e32 v113, v127, v114
	v_fma_f32 v114, v44, v116, -v136
	v_fmac_f32_e32 v115, v45, v116
	v_fma_f32 v116, v46, v118, -v137
	v_fmac_f32_e32 v117, v47, v118
	v_fma_f32 v118, v48, v120, -v138
	v_fmac_f32_e32 v119, v49, v120
	v_fma_f32 v120, v50, v122, -v139
	v_fmac_f32_e32 v121, v51, v122
	v_fma_f32 v122, v128, v124, -v140
	v_fmac_f32_e32 v123, v129, v124
	ds_store_2addr_b64 v101, v[55:56], v[52:53] offset0:32 offset1:64
	ds_store_2addr_b64 v101, v[130:131], v[96:97] offset0:96 offset1:128
	;; [unrolled: 1-line block ×3, first 2 shown]
	ds_store_2addr_b64 v104, v[118:119], v[120:121] offset1:32
	ds_store_b64 v98, v[112:113] offset:1280
	ds_store_b64 v101, v[122:123] offset:2560
	global_wb scope:SCOPE_SE
	s_wait_dscnt 0x0
	s_barrier_signal -1
	s_barrier_wait -1
	global_inv scope:SCOPE_SE
	ds_load_b64 v[46:47], v102
	ds_load_2addr_b64 v[48:51], v101 offset0:32 offset1:64
	ds_load_b64 v[44:45], v101 offset:2560
	ds_load_2addr_b64 v[36:39], v104 offset1:32
	ds_load_2addr_b64 v[40:43], v101 offset0:96 offset1:128
	ds_load_2addr_b64 v[52:55], v101 offset0:192 offset1:224
	ds_load_b64 v[96:97], v98 offset:1280
	v_add_nc_u32_e32 v56, 0x400, v101
	global_wb scope:SCOPE_SE
	s_wait_dscnt 0x0
	s_barrier_signal -1
	s_barrier_wait -1
	global_inv scope:SCOPE_SE
	v_add_f32_e32 v112, v47, v49
	v_add_f32_e32 v104, v46, v48
	;; [unrolled: 1-line block ×3, first 2 shown]
	v_dual_sub_f32 v49, v49, v45 :: v_dual_add_f32 v116, v39, v51
	v_sub_f32_e32 v118, v51, v39
	v_dual_sub_f32 v130, v97, v53 :: v_dual_add_f32 v51, v112, v51
	s_delay_alu instid0(VALU_DEP_3)
	v_dual_add_f32 v115, v38, v50 :: v_dual_mul_f32 v138, 0x3ed4b147, v116
	v_dual_sub_f32 v117, v50, v38 :: v_dual_mul_f32 v140, 0xbf27a4f4, v116
	v_dual_add_f32 v119, v36, v40 :: v_dual_mul_f32 v132, 0x3ed4b147, v114
	v_dual_add_f32 v120, v37, v41 :: v_dual_sub_f32 v121, v40, v36
	v_mul_f32_e32 v134, 0xbe11bafb, v114
	v_dual_sub_f32 v122, v41, v37 :: v_dual_add_f32 v123, v54, v42
	v_dual_mul_f32 v142, 0xbf75a155, v116 :: v_dual_sub_f32 v125, v42, v54
	v_mul_f32_e32 v144, 0xbe11bafb, v116
	v_dual_sub_f32 v126, v43, v55 :: v_dual_add_f32 v127, v52, v96
	v_dual_mul_f32 v136, 0xbf27a4f4, v114 :: v_dual_sub_f32 v129, v96, v52
	v_add_f32_e32 v50, v104, v50
	v_mul_f32_e32 v112, 0x3f575c64, v114
	v_dual_mul_f32 v114, 0xbf75a155, v114 :: v_dual_add_f32 v113, v44, v48
	v_mul_f32_e32 v104, 0xbf0a6770, v49
	v_dual_sub_f32 v48, v48, v44 :: v_dual_mul_f32 v137, 0xbf68dda4, v118
	v_mul_f32_e32 v139, 0xbf4178ce, v118
	v_mul_f32_e32 v141, 0x3e903f40, v118
	s_delay_alu instid0(VALU_DEP_3)
	v_dual_mul_f32 v143, 0x3f7d64f0, v118 :: v_dual_fmamk_f32 v172, v48, 0x3f7d64f0, v134
	v_mul_f32_e32 v118, 0x3f0a6770, v118
	v_dual_mul_f32 v116, 0x3f575c64, v116 :: v_dual_add_f32 v41, v51, v41
	v_mul_f32_e32 v163, 0x3f0a6770, v130
	v_dual_mul_f32 v131, 0xbf68dda4, v49 :: v_dual_add_f32 v40, v50, v40
	v_mul_f32_e32 v133, 0xbf7d64f0, v49
	v_mul_f32_e32 v135, 0xbf4178ce, v49
	;; [unrolled: 1-line block ×4, first 2 shown]
	v_dual_mul_f32 v157, 0xbf0a6770, v126 :: v_dual_fmamk_f32 v184, v117, 0xbf0a6770, v116
	v_fmac_f32_e32 v116, 0x3f0a6770, v117
	v_dual_fmamk_f32 v50, v113, 0x3f575c64, v104 :: v_dual_fmamk_f32 v201, v127, 0x3f575c64, v163
	v_dual_fmamk_f32 v51, v48, 0x3f0a6770, v112 :: v_dual_add_f32 v124, v55, v43
	v_dual_add_f32 v128, v53, v97 :: v_dual_mul_f32 v145, 0xbf7d64f0, v122
	v_fmac_f32_e32 v134, 0xbf7d64f0, v48
	v_mul_f32_e32 v147, 0x3e903f40, v122
	v_dual_mul_f32 v149, 0x3f68dda4, v122 :: v_dual_fmamk_f32 v170, v48, 0x3f68dda4, v132
	v_dual_mul_f32 v150, 0x3ed4b147, v120 :: v_dual_fmamk_f32 v169, v113, 0x3ed4b147, v131
	v_dual_mul_f32 v151, 0xbf0a6770, v122 :: v_dual_fmac_f32 v112, 0xbf0a6770, v48
	v_dual_mul_f32 v152, 0x3f575c64, v120 :: v_dual_fmamk_f32 v183, v115, 0x3f575c64, v118
	v_mul_f32_e32 v122, 0xbf4178ce, v122
	v_mul_f32_e32 v153, 0xbf4178ce, v126
	v_dual_mul_f32 v159, 0xbe903f40, v126 :: v_dual_fmamk_f32 v180, v117, 0xbe903f40, v142
	v_mul_f32_e32 v126, 0x3f68dda4, v126
	v_mul_f32_e32 v165, 0xbf4178ce, v130
	;; [unrolled: 1-line block ×3, first 2 shown]
	v_fma_f32 v104, 0x3f575c64, v113, -v104
	v_fma_f32 v131, 0x3ed4b147, v113, -v131
	v_fmamk_f32 v173, v113, 0xbf27a4f4, v135
	v_dual_fmamk_f32 v174, v48, 0x3f4178ce, v136 :: v_dual_add_f32 v41, v41, v43
	v_fma_f32 v135, 0xbf27a4f4, v113, -v135
	v_fmamk_f32 v176, v48, 0x3e903f40, v114
	v_fmac_f32_e32 v114, 0xbe903f40, v48
	v_dual_mul_f32 v148, 0xbf75a155, v120 :: v_dual_fmamk_f32 v175, v113, 0xbf75a155, v49
	v_mul_f32_e32 v161, 0xbe903f40, v130
	v_mul_f32_e32 v130, 0xbf7d64f0, v130
	v_dual_mul_f32 v146, 0xbe11bafb, v120 :: v_dual_fmamk_f32 v171, v113, 0xbe11bafb, v133
	v_mul_f32_e32 v120, 0xbf27a4f4, v120
	v_fma_f32 v133, 0xbe11bafb, v113, -v133
	v_fma_f32 v49, 0xbf75a155, v113, -v49
	v_fmamk_f32 v113, v117, 0x3f68dda4, v138
	v_fmamk_f32 v182, v117, 0xbf7d64f0, v144
	v_fmac_f32_e32 v144, 0x3f7d64f0, v117
	v_dual_fmamk_f32 v193, v123, 0xbe11bafb, v155 :: v_dual_add_f32 v40, v40, v42
	v_add_f32_e32 v42, v46, v50
	v_dual_fmac_f32 v138, 0xbf68dda4, v117 :: v_dual_add_f32 v43, v47, v51
	v_dual_mul_f32 v156, 0xbe11bafb, v124 :: v_dual_fmamk_f32 v181, v115, 0xbe11bafb, v143
	v_dual_mul_f32 v158, 0x3f575c64, v124 :: v_dual_fmamk_f32 v189, v119, 0x3f575c64, v151
	;; [unrolled: 1-line block ×6, first 2 shown]
	v_fmac_f32_e32 v132, 0xbf68dda4, v48
	v_fmac_f32_e32 v136, 0xbf4178ce, v48
	v_dual_mul_f32 v154, 0xbf27a4f4, v124 :: v_dual_fmamk_f32 v177, v115, 0xbf27a4f4, v139
	v_fmamk_f32 v48, v115, 0x3ed4b147, v137
	v_fma_f32 v137, 0x3ed4b147, v115, -v137
	v_dual_fmamk_f32 v178, v117, 0x3f4178ce, v140 :: v_dual_add_f32 v51, v47, v112
	v_fma_f32 v139, 0xbf27a4f4, v115, -v139
	v_fma_f32 v141, 0xbf75a155, v115, -v141
	v_fmac_f32_e32 v142, 0x3e903f40, v117
	v_dual_mul_f32 v162, 0xbf75a155, v128 :: v_dual_fmamk_f32 v185, v119, 0xbf75a155, v147
	v_mul_f32_e32 v128, 0xbe11bafb, v128
	v_fma_f32 v143, 0xbe11bafb, v115, -v143
	v_fma_f32 v115, 0x3f575c64, v115, -v118
	v_dual_fmamk_f32 v118, v121, 0x3f7d64f0, v146 :: v_dual_add_f32 v133, v46, v133
	v_fmamk_f32 v190, v121, 0x3f0a6770, v152
	v_dual_fmac_f32 v152, 0xbf0a6770, v121 :: v_dual_add_f32 v43, v113, v43
	v_dual_add_f32 v112, v47, v170 :: v_dual_add_f32 v41, v41, v97
	v_dual_mul_f32 v124, 0x3ed4b147, v124 :: v_dual_fmamk_f32 v187, v119, 0x3ed4b147, v149
	v_fmac_f32_e32 v140, 0xbf4178ce, v117
	v_fmamk_f32 v117, v119, 0xbe11bafb, v145
	v_fma_f32 v145, 0xbe11bafb, v119, -v145
	v_dual_fmac_f32 v146, 0xbf7d64f0, v121 :: v_dual_add_f32 v135, v46, v135
	v_fmamk_f32 v186, v121, 0xbe903f40, v148
	v_fma_f32 v147, 0xbf75a155, v119, -v147
	v_fmac_f32_e32 v148, 0x3e903f40, v121
	v_fmamk_f32 v188, v121, 0xbf68dda4, v150
	v_fma_f32 v149, 0x3ed4b147, v119, -v149
	v_fmac_f32_e32 v150, 0x3f68dda4, v121
	v_fma_f32 v151, 0x3f575c64, v119, -v151
	v_fmamk_f32 v192, v121, 0x3f4178ce, v120
	v_fma_f32 v119, 0xbf27a4f4, v119, -v122
	v_fmac_f32_e32 v120, 0xbf4178ce, v121
	v_dual_fmamk_f32 v121, v123, 0xbf27a4f4, v153 :: v_dual_add_f32 v50, v46, v104
	v_fmamk_f32 v122, v125, 0x3f4178ce, v154
	v_fma_f32 v153, 0xbf27a4f4, v123, -v153
	v_fmac_f32_e32 v154, 0xbf4178ce, v125
	v_fmamk_f32 v194, v125, 0xbf7d64f0, v156
	v_fma_f32 v155, 0xbe11bafb, v123, -v155
	v_fmamk_f32 v196, v125, 0x3f0a6770, v158
	v_fma_f32 v157, 0x3f575c64, v123, -v157
	v_dual_fmac_f32 v158, 0xbf0a6770, v125 :: v_dual_add_f32 v43, v118, v43
	v_dual_fmamk_f32 v197, v123, 0xbf75a155, v159 :: v_dual_add_f32 v104, v46, v169
	v_fma_f32 v159, 0xbf75a155, v123, -v159
	v_fma_f32 v123, 0x3ed4b147, v123, -v126
	v_fmamk_f32 v126, v129, 0x3e903f40, v162
	v_fmac_f32_e32 v162, 0xbe903f40, v129
	v_fmamk_f32 v202, v129, 0xbf0a6770, v164
	v_fmamk_f32 v203, v127, 0xbf27a4f4, v165
	;; [unrolled: 1-line block ×3, first 2 shown]
	v_fmac_f32_e32 v166, 0xbf4178ce, v129
	v_fmamk_f32 v206, v129, 0xbf68dda4, v168
	v_fmac_f32_e32 v168, 0x3f68dda4, v129
	v_fmamk_f32 v208, v129, 0x3f7d64f0, v128
	v_fmac_f32_e32 v128, 0xbf7d64f0, v129
	v_dual_add_f32 v134, v47, v134 :: v_dual_add_f32 v41, v41, v53
	v_dual_fmac_f32 v164, 0x3f0a6770, v129 :: v_dual_add_f32 v129, v46, v131
	v_add_f32_e32 v131, v46, v171
	v_add_f32_e32 v169, v46, v173
	s_delay_alu instid0(VALU_DEP_4)
	v_add_f32_e32 v41, v41, v55
	v_add_f32_e32 v171, v46, v175
	;; [unrolled: 1-line block ×3, first 2 shown]
	v_dual_add_f32 v49, v138, v51 :: v_dual_fmac_f32 v156, 0x3f7d64f0, v125
	v_fmamk_f32 v198, v125, 0x3e903f40, v160
	v_fmamk_f32 v200, v125, 0xbf68dda4, v124
	v_fmac_f32_e32 v124, 0x3f68dda4, v125
	v_fma_f32 v163, 0x3f575c64, v127, -v163
	v_fma_f32 v165, 0xbf27a4f4, v127, -v165
	v_dual_fmamk_f32 v205, v127, 0x3ed4b147, v167 :: v_dual_add_f32 v42, v48, v42
	v_fma_f32 v167, 0x3ed4b147, v127, -v167
	v_dual_fmamk_f32 v207, v127, 0xbe11bafb, v130 :: v_dual_add_f32 v48, v137, v50
	v_dual_add_f32 v51, v178, v112 :: v_dual_fmac_f32 v160, 0xbe903f40, v125
	v_dual_fmamk_f32 v125, v127, 0xbf75a155, v161 :: v_dual_add_f32 v40, v40, v96
	v_fma_f32 v161, 0xbf75a155, v127, -v161
	v_fma_f32 v127, 0xbe11bafb, v127, -v130
	v_dual_add_f32 v130, v47, v132 :: v_dual_add_f32 v113, v141, v133
	v_dual_add_f32 v132, v47, v172 :: v_dual_add_f32 v49, v146, v49
	;; [unrolled: 1-line block ×3, first 2 shown]
	s_delay_alu instid0(VALU_DEP_3) | instskip(SKIP_1) | instid1(VALU_DEP_4)
	v_add_f32_e32 v97, v140, v130
	v_add_f32_e32 v129, v181, v169
	v_dual_add_f32 v49, v154, v49 :: v_dual_add_f32 v112, v180, v132
	s_delay_alu instid0(VALU_DEP_3) | instskip(SKIP_1) | instid1(VALU_DEP_3)
	v_dual_add_f32 v170, v47, v174 :: v_dual_add_f32 v53, v148, v97
	v_dual_add_f32 v172, v47, v176 :: v_dual_add_f32 v43, v122, v43
	v_add_f32_e32 v97, v188, v112
	v_add_f32_e32 v136, v47, v136
	v_dual_add_f32 v47, v47, v114 :: v_dual_add_f32 v122, v41, v37
	v_add_f32_e32 v40, v40, v52
	v_dual_add_f32 v50, v177, v104 :: v_dual_add_f32 v133, v183, v171
	s_delay_alu instid0(VALU_DEP_3) | instskip(SKIP_1) | instid1(VALU_DEP_4)
	v_add_f32_e32 v47, v116, v47
	v_dual_add_f32 v53, v156, v53 :: v_dual_add_f32 v42, v117, v42
	v_dual_add_f32 v39, v122, v39 :: v_dual_add_f32 v40, v40, v54
	v_add_f32_e32 v104, v179, v131
	v_dual_add_f32 v114, v142, v134 :: v_dual_add_f32 v131, v143, v135
	v_dual_add_f32 v52, v147, v96 :: v_dual_add_f32 v47, v120, v47
	v_dual_add_f32 v42, v121, v42 :: v_dual_add_f32 v55, v196, v97
	v_add_f32_e32 v121, v40, v36
	v_add_f32_e32 v96, v187, v104
	;; [unrolled: 1-line block ×3, first 2 shown]
	v_dual_add_f32 v113, v189, v129 :: v_dual_add_f32 v130, v182, v170
	v_add_f32_e32 v46, v115, v46
	v_add_f32_e32 v115, v151, v131
	;; [unrolled: 1-line block ×4, first 2 shown]
	v_dual_add_f32 v43, v164, v53 :: v_dual_add_f32 v112, v150, v114
	v_add_f32_e32 v39, v39, v45
	v_dual_add_f32 v47, v204, v55 :: v_dual_add_f32 v114, v190, v130
	v_add_f32_e32 v117, v191, v133
	;; [unrolled: 2-line block ×4, first 2 shown]
	s_delay_alu instid0(VALU_DEP_4) | instskip(SKIP_1) | instid1(VALU_DEP_3)
	v_dual_add_f32 v41, v202, v51 :: v_dual_add_f32 v134, v184, v172
	v_add_f32_e32 v50, v185, v50
	v_dual_add_f32 v116, v152, v132 :: v_dual_add_f32 v51, v206, v113
	v_add_f32_e32 v113, v128, v120
	s_delay_alu instid0(VALU_DEP_4)
	v_add_f32_e32 v118, v192, v134
	v_add_f32_e32 v48, v145, v48
	;; [unrolled: 1-line block ×5, first 2 shown]
	v_dual_add_f32 v114, v159, v115 :: v_dual_add_f32 v115, v160, v116
	v_dual_add_f32 v116, v199, v117 :: v_dual_add_f32 v117, v200, v118
	v_add_f32_e32 v118, v123, v46
	v_dual_add_f32 v104, v157, v104 :: v_dual_add_f32 v97, v162, v49
	v_dual_add_f32 v49, v166, v119 :: v_dual_add_f32 v48, v153, v48
	v_add_f32_e32 v38, v121, v38
	v_add_f32_e32 v36, v125, v42
	;; [unrolled: 1-line block ×6, first 2 shown]
	v_dual_add_f32 v52, v167, v114 :: v_dual_add_f32 v53, v168, v115
	v_dual_add_f32 v54, v207, v116 :: v_dual_add_f32 v55, v208, v117
	v_add_f32_e32 v112, v127, v118
	v_add_f32_e32 v96, v161, v48
	;; [unrolled: 1-line block ×4, first 2 shown]
	ds_store_2addr_b64 v103, v[50:51], v[54:55] offset0:4 offset1:5
	ds_store_2addr_b64 v103, v[112:113], v[52:53] offset0:6 offset1:7
	;; [unrolled: 1-line block ×3, first 2 shown]
	ds_store_b64 v103, v[96:97] offset:80
	ds_store_2addr_b64 v103, v[40:41], v[46:47] offset0:2 offset1:3
	ds_store_2addr_b64 v103, v[38:39], v[36:37] offset1:1
	global_wb scope:SCOPE_SE
	s_wait_dscnt 0x0
	s_barrier_signal -1
	s_barrier_wait -1
	global_inv scope:SCOPE_SE
	ds_load_2addr_b64 v[40:43], v101 offset0:176 offset1:208
	ds_load_2addr_b64 v[44:47], v101 offset0:32 offset1:64
	ds_load_2addr_b64 v[36:39], v56 offset0:112 offset1:144
	ds_load_2addr_b64 v[53:56], v101 offset0:96 offset1:128
	ds_load_b64 v[48:49], v102
	ds_load_b64 v[50:51], v101 offset:2432
	s_and_saveexec_b32 s1, vcc_lo
	s_cbranch_execz .LBB0_11
; %bb.10:
	ds_load_b64 v[96:97], v98 offset:1280
	ds_load_b64 v[28:29], v101 offset:2688
.LBB0_11:
	s_wait_alu 0xfffe
	s_or_b32 exec_lo, exec_lo, s1
	s_wait_dscnt 0x5
	v_dual_mul_f32 v52, v89, v41 :: v_dual_mul_f32 v103, v91, v43
	v_mul_f32_e32 v89, v89, v40
	v_mul_f32_e32 v91, v91, v42
	global_wb scope:SCOPE_SE
	s_wait_dscnt 0x0
	v_dual_fmac_f32 v52, v88, v40 :: v_dual_fmac_f32 v103, v90, v42
	v_mul_f32_e32 v42, v85, v37
	v_fma_f32 v41, v88, v41, -v89
	v_dual_mul_f32 v40, v85, v36 :: v_dual_mul_f32 v85, v87, v39
	s_delay_alu instid0(VALU_DEP_3)
	v_dual_mul_f32 v87, v87, v38 :: v_dual_fmac_f32 v42, v84, v36
	v_mul_f32_e32 v88, v83, v51
	v_dual_mul_f32 v36, v83, v50 :: v_dual_mul_f32 v83, v81, v29
	v_fma_f32 v43, v90, v43, -v91
	v_fma_f32 v84, v84, v37, -v40
	v_dual_fmac_f32 v85, v86, v38 :: v_dual_sub_f32 v40, v48, v52
	v_dual_fmac_f32 v88, v82, v50 :: v_dual_mul_f32 v37, v81, v28
	v_fma_f32 v51, v82, v51, -v36
	v_dual_sub_f32 v41, v49, v41 :: v_dual_sub_f32 v36, v44, v103
	v_fma_f32 v86, v86, v39, -v87
	v_fmac_f32_e32 v83, v80, v28
	v_fma_f32 v29, v80, v29, -v37
	v_fma_f32 v80, v48, 2.0, -v40
	v_sub_f32_e32 v48, v46, v42
	v_fma_f32 v81, v49, 2.0, -v41
	v_dual_sub_f32 v37, v45, v43 :: v_dual_sub_f32 v52, v55, v88
	v_sub_f32_e32 v49, v47, v84
	v_fma_f32 v42, v44, 2.0, -v36
	v_sub_f32_e32 v44, v53, v85
	s_delay_alu instid0(VALU_DEP_4) | instskip(SKIP_2) | instid1(VALU_DEP_4)
	v_fma_f32 v43, v45, 2.0, -v37
	v_dual_sub_f32 v45, v54, v86 :: v_dual_sub_f32 v28, v96, v83
	v_sub_f32_e32 v29, v97, v29
	v_fma_f32 v50, v53, 2.0, -v44
	v_sub_f32_e32 v53, v56, v51
	v_fma_f32 v38, v46, 2.0, -v48
	v_fma_f32 v39, v47, 2.0, -v49
	;; [unrolled: 1-line block ×7, first 2 shown]
	s_barrier_signal -1
	s_barrier_wait -1
	global_inv scope:SCOPE_SE
	ds_store_2addr_b64 v109, v[80:81], v[40:41] offset1:11
	ds_store_2addr_b64 v108, v[42:43], v[36:37] offset1:11
	;; [unrolled: 1-line block ×5, first 2 shown]
	s_and_saveexec_b32 s1, vcc_lo
	s_cbranch_execz .LBB0_13
; %bb.12:
	v_mul_u32_u24_e32 v56, 22, v110
	s_delay_alu instid0(VALU_DEP_1) | instskip(NEXT) | instid1(VALU_DEP_1)
	v_add_nc_u32_e32 v56, v56, v105
	v_lshl_add_u32 v56, v56, 3, v99
	ds_store_2addr_b64 v56, v[54:55], v[28:29] offset1:11
.LBB0_13:
	s_wait_alu 0xfffe
	s_or_b32 exec_lo, exec_lo, s1
	global_wb scope:SCOPE_SE
	s_wait_dscnt 0x0
	s_barrier_signal -1
	s_barrier_wait -1
	global_inv scope:SCOPE_SE
	s_and_saveexec_b32 s1, s0
	s_cbranch_execz .LBB0_15
; %bb.14:
	v_add_nc_u32_e32 v28, 0x400, v101
	v_add_nc_u32_e32 v32, 0x800, v101
	ds_load_2addr_b64 v[40:43], v101 offset0:22 offset1:44
	ds_load_2addr_b64 v[36:39], v101 offset0:66 offset1:88
	;; [unrolled: 1-line block ×7, first 2 shown]
	ds_load_b64 v[80:81], v102
	ds_load_b64 v[94:95], v101 offset:2640
.LBB0_15:
	s_wait_alu 0xfffe
	s_or_b32 exec_lo, exec_lo, s1
	s_and_saveexec_b32 s1, s0
	s_cbranch_execz .LBB0_17
; %bb.16:
	s_wait_dscnt 0x2
	v_mul_f32_e32 v84, v27, v35
	v_mul_f32_e32 v83, v15, v51
	v_mul_f32_e32 v27, v27, v34
	s_delay_alu instid0(VALU_DEP_3) | instskip(NEXT) | instid1(VALU_DEP_3)
	v_dual_mul_f32 v87, v19, v31 :: v_dual_fmac_f32 v84, v26, v34
	v_fmac_f32_e32 v83, v14, v50
	s_delay_alu instid0(VALU_DEP_1) | instskip(SKIP_2) | instid1(VALU_DEP_2)
	v_dual_fmac_f32 v87, v18, v30 :: v_dual_sub_f32 v84, v83, v84
	v_mul_f32_e32 v85, v3, v46
	v_mul_f32_e32 v3, v3, v47
	v_fma_f32 v85, v2, v47, -v85
	v_mul_f32_e32 v56, v11, v42
	v_mul_f32_e32 v11, v11, v43
	s_delay_alu instid0(VALU_DEP_4)
	v_dual_mul_f32 v86, v7, v39 :: v_dual_fmac_f32 v3, v2, v46
	s_wait_dscnt 0x1
	v_sub_f32_e32 v85, v81, v85
	v_fma_f32 v56, v10, v43, -v56
	v_fmac_f32_e32 v11, v10, v42
	v_fmac_f32_e32 v86, v6, v38
	v_dual_mul_f32 v15, v15, v50 :: v_dual_mul_f32 v10, v5, v36
	v_mul_f32_e32 v50, v9, v40
	v_mul_f32_e32 v9, v9, v41
	s_delay_alu instid0(VALU_DEP_3)
	v_fma_f32 v14, v14, v51, -v15
	v_fma_f32 v15, v26, v35, -v27
	v_mul_f32_e32 v82, v23, v54
	v_mul_f32_e32 v23, v23, v55
	v_fma_f32 v10, v4, v37, -v10
	v_fma_f32 v50, v8, v41, -v50
	v_sub_f32_e32 v15, v14, v15
	v_fma_f32 v82, v22, v55, -v82
	v_dual_fmac_f32 v23, v22, v54 :: v_dual_mul_f32 v22, v17, v28
	v_mul_f32_e32 v51, v21, v52
	v_fmac_f32_e32 v9, v8, v40
	s_delay_alu instid0(VALU_DEP_4)
	v_sub_f32_e32 v82, v56, v82
	v_sub_f32_e32 v34, v86, v87
	v_fma_f32 v22, v16, v29, -v22
	v_sub_f32_e32 v23, v11, v23
	v_mul_f32_e32 v27, v1, v45
	v_mul_f32_e32 v1, v1, v44
	v_sub_f32_e32 v26, v85, v34
	v_sub_f32_e32 v88, v82, v84
	s_delay_alu instid0(VALU_DEP_4)
	v_dual_add_f32 v42, v15, v23 :: v_dual_fmac_f32 v27, v0, v44
	v_mul_f32_e32 v54, v13, v49
	s_wait_dscnt 0x0
	v_mul_f32_e32 v43, v93, v95
	v_fma_f32 v45, v0, v45, -v1
	v_dual_fmamk_f32 v35, v88, 0x3f3504f3, v26 :: v_dual_sub_f32 v22, v10, v22
	v_mul_f32_e32 v1, v17, v29
	v_fma_f32 v11, v11, 2.0, -v23
	v_fmac_f32_e32 v54, v12, v48
	v_fmac_f32_e32 v43, v92, v94
	v_mul_f32_e32 v44, v93, v94
	v_mul_f32_e32 v5, v5, v37
	v_fma_f32 v41, v85, 2.0, -v26
	v_fmac_f32_e32 v1, v16, v28
	v_fma_f32 v10, v10, 2.0, -v22
	v_fma_f32 v0, v92, v95, -v44
	s_delay_alu instid0(VALU_DEP_1) | instskip(SKIP_2) | instid1(VALU_DEP_2)
	v_sub_f32_e32 v37, v45, v0
	v_dual_mul_f32 v0, v13, v48 :: v_dual_sub_f32 v43, v27, v43
	v_mul_f32_e32 v13, v21, v53
	v_fma_f32 v0, v12, v49, -v0
	s_delay_alu instid0(VALU_DEP_3) | instskip(NEXT) | instid1(VALU_DEP_3)
	v_sub_f32_e32 v17, v22, v43
	v_fmac_f32_e32 v13, v20, v52
	v_fmac_f32_e32 v5, v4, v36
	v_mul_f32_e32 v4, v25, v32
	s_delay_alu instid0(VALU_DEP_3) | instskip(NEXT) | instid1(VALU_DEP_3)
	v_sub_f32_e32 v12, v9, v13
	v_sub_f32_e32 v16, v5, v1
	s_delay_alu instid0(VALU_DEP_3)
	v_fma_f32 v1, v24, v33, -v4
	v_mul_f32_e32 v4, v7, v38
	v_mul_f32_e32 v7, v19, v30
	v_fma_f32 v51, v20, v53, -v51
	v_fma_f32 v28, v5, 2.0, -v16
	v_sub_f32_e32 v8, v0, v1
	v_mul_f32_e32 v55, v25, v33
	v_fma_f32 v4, v6, v39, -v4
	v_sub_f32_e32 v51, v50, v51
	v_fma_f32 v1, v18, v31, -v7
	v_add_f32_e32 v18, v8, v12
	v_sub_f32_e32 v7, v80, v3
	v_fma_f32 v5, v27, 2.0, -v43
	v_fma_f32 v25, v50, 2.0, -v51
	v_sub_f32_e32 v6, v4, v1
	v_fmac_f32_e32 v55, v24, v32
	v_add_f32_e32 v2, v37, v16
	v_fma_f32 v38, v56, 2.0, -v82
	v_sub_f32_e32 v32, v28, v5
	v_add_f32_e32 v20, v6, v7
	v_sub_f32_e32 v55, v54, v55
	v_fma_f32 v3, v4, 2.0, -v6
	v_fma_f32 v4, v83, 2.0, -v84
	;; [unrolled: 1-line block ×5, first 2 shown]
	v_sub_f32_e32 v29, v51, v55
	s_delay_alu instid0(VALU_DEP_4)
	v_dual_sub_f32 v30, v11, v4 :: v_dual_sub_f32 v31, v25, v6
	v_fma_f32 v4, v45, 2.0, -v37
	v_fma_f32 v37, v9, 2.0, -v12
	;; [unrolled: 1-line block ×4, first 2 shown]
	v_sub_f32_e32 v39, v38, v8
	v_sub_f32_e32 v15, v10, v4
	v_fma_f32 v11, v11, 2.0, -v30
	v_dual_fmamk_f32 v19, v2, 0x3f3504f3, v18 :: v_dual_sub_f32 v34, v37, v6
	v_sub_f32_e32 v40, v14, v9
	v_fma_f32 v24, v81, 2.0, -v85
	v_dual_sub_f32 v36, v31, v32 :: v_dual_fmamk_f32 v13, v17, 0x3f3504f3, v29
	v_fma_f32 v8, v22, 2.0, -v17
	v_fmac_f32_e32 v19, 0x3f3504f3, v17
	v_add_f32_e32 v17, v15, v34
	v_dual_add_f32 v22, v39, v40 :: v_dual_sub_f32 v27, v24, v3
	v_fmamk_f32 v21, v42, 0x3f3504f3, v20
	v_fma_f32 v9, v23, 2.0, -v42
	v_fma_f32 v37, v37, 2.0, -v34
	s_delay_alu instid0(VALU_DEP_4)
	v_fmamk_f32 v4, v17, 0x3f3504f3, v22
	v_fma_f32 v24, v24, 2.0, -v27
	v_fmac_f32_e32 v35, 0xbf3504f3, v42
	v_fma_f32 v42, v12, 2.0, -v18
	v_fma_f32 v6, v82, 2.0, -v88
	v_fmac_f32_e32 v4, 0x3f3504f3, v36
	v_fmac_f32_e32 v13, 0xbf3504f3, v2
	v_fma_f32 v2, v16, 2.0, -v2
	v_fma_f32 v16, v28, 2.0, -v32
	;; [unrolled: 1-line block ×5, first 2 shown]
	v_fmamk_f32 v46, v2, 0xbf3504f3, v42
	v_sub_f32_e32 v32, v37, v16
	v_fma_f32 v45, v7, 2.0, -v20
	v_fma_f32 v43, v51, 2.0, -v29
	;; [unrolled: 1-line block ×3, first 2 shown]
	v_fmac_f32_e32 v46, 0x3f3504f3, v8
	s_delay_alu instid0(VALU_DEP_4) | instskip(SKIP_4) | instid1(VALU_DEP_4)
	v_dual_sub_f32 v38, v28, v11 :: v_dual_fmamk_f32 v47, v9, 0xbf3504f3, v45
	v_sub_f32_e32 v39, v25, v10
	v_fmac_f32_e32 v21, 0x3f3504f3, v88
	v_fmamk_f32 v44, v6, 0xbf3504f3, v41
	v_fmamk_f32 v23, v8, 0xbf3504f3, v43
	v_dual_fmac_f32 v47, 0x3f3504f3, v6 :: v_dual_add_f32 v10, v38, v39
	s_delay_alu instid0(VALU_DEP_4) | instskip(NEXT) | instid1(VALU_DEP_3)
	v_fmamk_f32 v0, v19, 0x3f6c835e, v21
	v_dual_fmac_f32 v44, 0xbf3504f3, v9 :: v_dual_fmac_f32 v23, 0xbf3504f3, v2
	s_delay_alu instid0(VALU_DEP_3) | instskip(SKIP_3) | instid1(VALU_DEP_4)
	v_dual_fmamk_f32 v6, v46, 0x3ec3ef15, v47 :: v_dual_sub_f32 v33, v27, v30
	v_sub_f32_e32 v30, v24, v12
	v_fma_f32 v14, v26, 2.0, -v35
	v_fma_f32 v26, v29, 2.0, -v13
	v_dual_fmamk_f32 v1, v13, 0x3f6c835e, v35 :: v_dual_fmac_f32 v6, 0x3f6c835e, v23
	v_fmac_f32_e32 v0, 0x3ec3ef15, v13
	v_fma_f32 v12, v18, 2.0, -v19
	s_delay_alu instid0(VALU_DEP_4)
	v_fmamk_f32 v13, v26, 0xbec3ef15, v14
	v_fma_f32 v29, v31, 2.0, -v36
	v_fma_f32 v18, v20, 2.0, -v21
	;; [unrolled: 1-line block ×4, first 2 shown]
	v_fmac_f32_e32 v13, 0xbf6c835e, v12
	s_delay_alu instid0(VALU_DEP_4) | instskip(SKIP_2) | instid1(VALU_DEP_4)
	v_dual_fmac_f32 v1, 0xbec3ef15, v19 :: v_dual_fmamk_f32 v12, v12, 0xbec3ef15, v18
	v_sub_f32_e32 v11, v30, v32
	v_fma_f32 v34, v43, 2.0, -v23
	v_fma_f32 v19, v14, 2.0, -v13
	v_fmamk_f32 v14, v20, 0xbf3504f3, v31
	v_fma_f32 v27, v27, 2.0, -v33
	v_fmamk_f32 v5, v36, 0x3f3504f3, v33
	v_fmac_f32_e32 v12, 0x3f6c835e, v26
	v_fma_f32 v26, v45, 2.0, -v47
	v_fmac_f32_e32 v14, 0x3f3504f3, v29
	v_fmamk_f32 v15, v29, 0xbf3504f3, v27
	v_fmac_f32_e32 v5, 0xbf3504f3, v17
	v_fma_f32 v2, v21, 2.0, -v0
	v_fma_f32 v17, v30, 2.0, -v11
	v_fma_f32 v30, v24, 2.0, -v30
	v_fmac_f32_e32 v15, 0xbf3504f3, v20
	v_fma_f32 v9, v33, 2.0, -v5
	v_fma_f32 v33, v41, 2.0, -v44
	;; [unrolled: 1-line block ×7, first 2 shown]
	v_fmamk_f32 v7, v23, 0x3ec3ef15, v44
	v_fma_f32 v8, v22, 2.0, -v4
	v_dual_fmamk_f32 v23, v34, 0xbf6c835e, v33 :: v_dual_fmamk_f32 v22, v20, 0xbf6c835e, v26
	s_delay_alu instid0(VALU_DEP_4) | instskip(NEXT) | instid1(VALU_DEP_4)
	v_dual_sub_f32 v25, v30, v24 :: v_dual_sub_f32 v24, v28, v27
	v_fmac_f32_e32 v7, 0xbf6c835e, v46
	s_delay_alu instid0(VALU_DEP_3) | instskip(NEXT) | instid1(VALU_DEP_4)
	v_fmac_f32_e32 v23, 0xbec3ef15, v20
	v_fmac_f32_e32 v22, 0x3ec3ef15, v34
	s_delay_alu instid0(VALU_DEP_4)
	v_fma_f32 v29, v30, 2.0, -v25
	v_fma_f32 v28, v28, 2.0, -v24
	;; [unrolled: 1-line block ×10, first 2 shown]
	ds_store_b64 v102, v[28:29]
	ds_store_2addr_b64 v101, v[26:27], v[20:21] offset0:22 offset1:44
	ds_store_2addr_b64 v101, v[18:19], v[16:17] offset0:66 offset1:88
	v_add_nc_u32_e32 v16, 0x400, v101
	v_add_nc_u32_e32 v17, 0x800, v101
	ds_store_2addr_b64 v101, v[30:31], v[8:9] offset0:110 offset1:132
	ds_store_2addr_b64 v101, v[2:3], v[24:25] offset0:154 offset1:176
	;; [unrolled: 1-line block ×5, first 2 shown]
	ds_store_b64 v101, v[0:1] offset:2640
.LBB0_17:
	s_wait_alu 0xfffe
	s_or_b32 exec_lo, exec_lo, s1
	global_wb scope:SCOPE_SE
	s_wait_dscnt 0x0
	s_barrier_signal -1
	s_barrier_wait -1
	global_inv scope:SCOPE_SE
	ds_load_b64 v[16:17], v102
	ds_load_2addr_b64 v[0:3], v101 offset0:32 offset1:64
	ds_load_2addr_b64 v[4:7], v101 offset0:96 offset1:128
	ds_load_b64 v[22:23], v98 offset:1280
	ds_load_2addr_b64 v[8:11], v101 offset0:192 offset1:224
	v_add_nc_u32_e32 v12, 0x800, v101
	v_mad_co_u64_u32 v[18:19], null, s6, v57, 0
	v_mad_co_u64_u32 v[20:21], null, s4, v100, 0
	s_mov_b32 s0, 0x745d1746
	s_mov_b32 s1, 0x3f6745d1
	s_delay_alu instid0(VALU_DEP_1)
	v_mad_co_u64_u32 v[48:49], null, s7, v57, v[19:20]
	s_wait_dscnt 0x4
	v_mul_f32_e32 v26, v59, v17
	s_wait_dscnt 0x3
	v_mul_f32_e32 v31, v63, v3
	;; [unrolled: 2-line block ×3, first 2 shown]
	ds_load_b64 v[24:25], v101 offset:2560
	ds_load_2addr_b64 v[12:15], v12 offset1:32
	v_mul_f32_e32 v34, v67, v7
	v_dual_mul_f32 v28, v59, v16 :: v_dual_mul_f32 v29, v61, v1
	v_dual_mul_f32 v30, v61, v0 :: v_dual_mul_f32 v35, v67, v6
	s_wait_dscnt 0x3
	v_dual_fmac_f32 v26, v58, v16 :: v_dual_mul_f32 v37, v69, v22
	s_wait_dscnt 0x2
	v_dual_mul_f32 v36, v69, v23 :: v_dual_mul_f32 v41, v75, v10
	v_fmac_f32_e32 v31, v62, v2
	v_fmac_f32_e32 v34, v66, v6
	v_fma_f32 v17, v58, v17, -v28
	v_fma_f32 v28, v60, v1, -v30
	;; [unrolled: 1-line block ×4, first 2 shown]
	v_fmac_f32_e32 v36, v68, v22
	v_fma_f32 v35, v68, v23, -v37
	v_dual_mul_f32 v16, v63, v2 :: v_dual_fmac_f32 v29, v60, v0
	s_wait_dscnt 0x1
	v_mul_f32_e32 v47, v79, v24
	v_cvt_f64_f32_e32 v[22:23], v34
	v_dual_mul_f32 v32, v65, v5 :: v_dual_mul_f32 v39, v71, v8
	v_cvt_f64_f32_e32 v[26:27], v26
	v_cvt_f64_f32_e32 v[0:1], v17
	v_fma_f32 v16, v62, v3, -v16
	v_cvt_f64_f32_e32 v[2:3], v29
	s_wait_dscnt 0x0
	v_dual_mul_f32 v38, v71, v9 :: v_dual_mul_f32 v45, v77, v14
	v_fma_f32 v37, v70, v9, -v39
	v_mul_f32_e32 v42, v73, v13
	v_cvt_f64_f32_e32 v[6:7], v31
	s_delay_alu instid0(VALU_DEP_4)
	v_fmac_f32_e32 v38, v70, v8
	v_cvt_f64_f32_e32 v[8:9], v16
	v_dual_mul_f32 v40, v75, v11 :: v_dual_mov_b32 v19, v48
	v_fmac_f32_e32 v42, v72, v12
	v_mul_f32_e32 v12, v73, v12
	v_mul_f32_e32 v44, v77, v15
	;; [unrolled: 1-line block ×3, first 2 shown]
	v_fmac_f32_e32 v40, v74, v10
	v_fma_f32 v41, v74, v11, -v41
	v_cvt_f64_f32_e32 v[16:17], v30
	v_cvt_f64_f32_e32 v[30:31], v36
	v_fma_f32 v12, v72, v13, -v12
	v_fmac_f32_e32 v44, v76, v14
	v_fma_f32 v45, v76, v15, -v45
	v_fmac_f32_e32 v46, v78, v24
	v_fma_f32 v47, v78, v25, -v47
	v_cvt_f64_f32_e32 v[36:37], v37
	v_cvt_f64_f32_e32 v[42:43], v42
	;; [unrolled: 1-line block ×7, first 2 shown]
	v_lshlrev_b64_e32 v[18:19], 3, v[18:19]
	v_mad_co_u64_u32 v[49:50], null, s5, v100, v[21:22]
	v_fmac_f32_e32 v32, v64, v4
	v_cvt_f64_f32_e32 v[4:5], v28
	v_cvt_f64_f32_e32 v[28:29], v33
	s_wait_alu 0xfffe
	v_mul_f64_e32 v[26:27], s[0:1], v[26:27]
	v_mul_f64_e32 v[0:1], s[0:1], v[0:1]
	;; [unrolled: 1-line block ×3, first 2 shown]
	v_mov_b32_e32 v21, v49
	v_cvt_f64_f32_e32 v[10:11], v32
	v_cvt_f64_f32_e32 v[32:33], v35
	;; [unrolled: 1-line block ×5, first 2 shown]
	v_mul_f64_e32 v[6:7], s[0:1], v[6:7]
	v_mul_f64_e32 v[8:9], s[0:1], v[8:9]
	v_add_co_u32 v48, vcc_lo, s2, v18
	v_mul_f64_e32 v[22:23], s[0:1], v[22:23]
	s_wait_alu 0xfffd
	v_add_co_ci_u32_e32 v49, vcc_lo, s3, v19, vcc_lo
	v_lshlrev_b64_e32 v[18:19], 3, v[20:21]
	v_mul_f64_e32 v[16:17], s[0:1], v[16:17]
	v_mul_f64_e32 v[20:21], s[0:1], v[30:31]
	;; [unrolled: 1-line block ×7, first 2 shown]
	v_cvt_f32_f64_e32 v26, v[26:27]
	v_cvt_f32_f64_e32 v27, v[0:1]
	;; [unrolled: 1-line block ×3, first 2 shown]
	v_add_co_u32 v0, vcc_lo, v48, v18
	v_mul_f64_e32 v[10:11], s[0:1], v[10:11]
	v_mul_f64_e32 v[30:31], s[0:1], v[32:33]
	;; [unrolled: 1-line block ×9, first 2 shown]
	s_wait_alu 0xfffd
	v_add_co_ci_u32_e32 v1, vcc_lo, v49, v19, vcc_lo
	v_cvt_f32_f64_e32 v6, v[6:7]
	v_cvt_f32_f64_e32 v7, v[8:9]
	s_lshl_b64 s[0:1], s[4:5], 8
	v_cvt_f32_f64_e32 v20, v[20:21]
	v_cvt_f32_f64_e32 v3, v[4:5]
	s_wait_alu 0xfffe
	v_add_co_u32 v4, vcc_lo, v0, s0
	s_wait_alu 0xfffd
	v_add_co_ci_u32_e32 v5, vcc_lo, s1, v1, vcc_lo
	global_store_b64 v[0:1], v[26:27], off
	v_add_co_u32 v8, vcc_lo, v4, s0
	s_wait_alu 0xfffd
	v_add_co_ci_u32_e32 v9, vcc_lo, s1, v5, vcc_lo
	v_cvt_f32_f64_e32 v10, v[10:11]
	v_cvt_f32_f64_e32 v11, v[16:17]
	;; [unrolled: 1-line block ×5, first 2 shown]
	v_add_co_u32 v18, vcc_lo, v8, s0
	v_cvt_f32_f64_e32 v22, v[32:33]
	v_cvt_f32_f64_e32 v23, v[34:35]
	;; [unrolled: 1-line block ×4, first 2 shown]
	s_wait_alu 0xfffd
	v_add_co_ci_u32_e32 v19, vcc_lo, s1, v9, vcc_lo
	v_cvt_f32_f64_e32 v30, v[40:41]
	v_cvt_f32_f64_e32 v31, v[12:13]
	;; [unrolled: 1-line block ×6, first 2 shown]
	v_add_co_u32 v24, vcc_lo, v18, s0
	s_wait_alu 0xfffd
	v_add_co_ci_u32_e32 v25, vcc_lo, s1, v19, vcc_lo
	s_delay_alu instid0(VALU_DEP_2) | instskip(SKIP_1) | instid1(VALU_DEP_2)
	v_add_co_u32 v0, vcc_lo, v24, s0
	s_wait_alu 0xfffd
	v_add_co_ci_u32_e32 v1, vcc_lo, s1, v25, vcc_lo
	global_store_b64 v[4:5], v[2:3], off
	v_add_co_u32 v2, vcc_lo, v0, s0
	s_wait_alu 0xfffd
	v_add_co_ci_u32_e32 v3, vcc_lo, s1, v1, vcc_lo
	global_store_b64 v[8:9], v[6:7], off
	v_add_co_u32 v4, vcc_lo, v2, s0
	s_wait_alu 0xfffd
	v_add_co_ci_u32_e32 v5, vcc_lo, s1, v3, vcc_lo
	s_delay_alu instid0(VALU_DEP_2) | instskip(SKIP_1) | instid1(VALU_DEP_2)
	v_add_co_u32 v6, vcc_lo, v4, s0
	s_wait_alu 0xfffd
	v_add_co_ci_u32_e32 v7, vcc_lo, s1, v5, vcc_lo
	global_store_b64 v[18:19], v[10:11], off
	v_add_co_u32 v8, vcc_lo, v6, s0
	s_wait_alu 0xfffd
	v_add_co_ci_u32_e32 v9, vcc_lo, s1, v7, vcc_lo
	global_store_b64 v[24:25], v[16:17], off
	global_store_b64 v[0:1], v[20:21], off
	v_add_co_u32 v0, vcc_lo, v8, s0
	s_wait_alu 0xfffd
	v_add_co_ci_u32_e32 v1, vcc_lo, s1, v9, vcc_lo
	global_store_b64 v[2:3], v[22:23], off
	global_store_b64 v[4:5], v[28:29], off
	;; [unrolled: 1-line block ×5, first 2 shown]
.LBB0_18:
	s_nop 0
	s_sendmsg sendmsg(MSG_DEALLOC_VGPRS)
	s_endpgm
	.section	.rodata,"a",@progbits
	.p2align	6, 0x0
	.amdhsa_kernel bluestein_single_back_len352_dim1_sp_op_CI_CI
		.amdhsa_group_segment_fixed_size 5632
		.amdhsa_private_segment_fixed_size 0
		.amdhsa_kernarg_size 104
		.amdhsa_user_sgpr_count 2
		.amdhsa_user_sgpr_dispatch_ptr 0
		.amdhsa_user_sgpr_queue_ptr 0
		.amdhsa_user_sgpr_kernarg_segment_ptr 1
		.amdhsa_user_sgpr_dispatch_id 0
		.amdhsa_user_sgpr_private_segment_size 0
		.amdhsa_wavefront_size32 1
		.amdhsa_uses_dynamic_stack 0
		.amdhsa_enable_private_segment 0
		.amdhsa_system_sgpr_workgroup_id_x 1
		.amdhsa_system_sgpr_workgroup_id_y 0
		.amdhsa_system_sgpr_workgroup_id_z 0
		.amdhsa_system_sgpr_workgroup_info 0
		.amdhsa_system_vgpr_workitem_id 0
		.amdhsa_next_free_vgpr 209
		.amdhsa_next_free_sgpr 20
		.amdhsa_reserve_vcc 1
		.amdhsa_float_round_mode_32 0
		.amdhsa_float_round_mode_16_64 0
		.amdhsa_float_denorm_mode_32 3
		.amdhsa_float_denorm_mode_16_64 3
		.amdhsa_fp16_overflow 0
		.amdhsa_workgroup_processor_mode 1
		.amdhsa_memory_ordered 1
		.amdhsa_forward_progress 0
		.amdhsa_round_robin_scheduling 0
		.amdhsa_exception_fp_ieee_invalid_op 0
		.amdhsa_exception_fp_denorm_src 0
		.amdhsa_exception_fp_ieee_div_zero 0
		.amdhsa_exception_fp_ieee_overflow 0
		.amdhsa_exception_fp_ieee_underflow 0
		.amdhsa_exception_fp_ieee_inexact 0
		.amdhsa_exception_int_div_zero 0
	.end_amdhsa_kernel
	.text
.Lfunc_end0:
	.size	bluestein_single_back_len352_dim1_sp_op_CI_CI, .Lfunc_end0-bluestein_single_back_len352_dim1_sp_op_CI_CI
                                        ; -- End function
	.section	.AMDGPU.csdata,"",@progbits
; Kernel info:
; codeLenInByte = 11888
; NumSgprs: 22
; NumVgprs: 209
; ScratchSize: 0
; MemoryBound: 0
; FloatMode: 240
; IeeeMode: 1
; LDSByteSize: 5632 bytes/workgroup (compile time only)
; SGPRBlocks: 2
; VGPRBlocks: 26
; NumSGPRsForWavesPerEU: 22
; NumVGPRsForWavesPerEU: 209
; Occupancy: 7
; WaveLimiterHint : 1
; COMPUTE_PGM_RSRC2:SCRATCH_EN: 0
; COMPUTE_PGM_RSRC2:USER_SGPR: 2
; COMPUTE_PGM_RSRC2:TRAP_HANDLER: 0
; COMPUTE_PGM_RSRC2:TGID_X_EN: 1
; COMPUTE_PGM_RSRC2:TGID_Y_EN: 0
; COMPUTE_PGM_RSRC2:TGID_Z_EN: 0
; COMPUTE_PGM_RSRC2:TIDIG_COMP_CNT: 0
	.text
	.p2alignl 7, 3214868480
	.fill 96, 4, 3214868480
	.type	__hip_cuid_95d9961cedcb06ba,@object ; @__hip_cuid_95d9961cedcb06ba
	.section	.bss,"aw",@nobits
	.globl	__hip_cuid_95d9961cedcb06ba
__hip_cuid_95d9961cedcb06ba:
	.byte	0                               ; 0x0
	.size	__hip_cuid_95d9961cedcb06ba, 1

	.ident	"AMD clang version 19.0.0git (https://github.com/RadeonOpenCompute/llvm-project roc-6.4.0 25133 c7fe45cf4b819c5991fe208aaa96edf142730f1d)"
	.section	".note.GNU-stack","",@progbits
	.addrsig
	.addrsig_sym __hip_cuid_95d9961cedcb06ba
	.amdgpu_metadata
---
amdhsa.kernels:
  - .args:
      - .actual_access:  read_only
        .address_space:  global
        .offset:         0
        .size:           8
        .value_kind:     global_buffer
      - .actual_access:  read_only
        .address_space:  global
        .offset:         8
        .size:           8
        .value_kind:     global_buffer
      - .actual_access:  read_only
        .address_space:  global
        .offset:         16
        .size:           8
        .value_kind:     global_buffer
      - .actual_access:  read_only
        .address_space:  global
        .offset:         24
        .size:           8
        .value_kind:     global_buffer
      - .actual_access:  read_only
        .address_space:  global
        .offset:         32
        .size:           8
        .value_kind:     global_buffer
      - .offset:         40
        .size:           8
        .value_kind:     by_value
      - .address_space:  global
        .offset:         48
        .size:           8
        .value_kind:     global_buffer
      - .address_space:  global
        .offset:         56
        .size:           8
        .value_kind:     global_buffer
      - .address_space:  global
        .offset:         64
        .size:           8
        .value_kind:     global_buffer
      - .address_space:  global
        .offset:         72
        .size:           8
        .value_kind:     global_buffer
      - .offset:         80
        .size:           4
        .value_kind:     by_value
      - .address_space:  global
        .offset:         88
        .size:           8
        .value_kind:     global_buffer
      - .address_space:  global
        .offset:         96
        .size:           8
        .value_kind:     global_buffer
    .group_segment_fixed_size: 5632
    .kernarg_segment_align: 8
    .kernarg_segment_size: 104
    .language:       OpenCL C
    .language_version:
      - 2
      - 0
    .max_flat_workgroup_size: 64
    .name:           bluestein_single_back_len352_dim1_sp_op_CI_CI
    .private_segment_fixed_size: 0
    .sgpr_count:     22
    .sgpr_spill_count: 0
    .symbol:         bluestein_single_back_len352_dim1_sp_op_CI_CI.kd
    .uniform_work_group_size: 1
    .uses_dynamic_stack: false
    .vgpr_count:     209
    .vgpr_spill_count: 0
    .wavefront_size: 32
    .workgroup_processor_mode: 1
amdhsa.target:   amdgcn-amd-amdhsa--gfx1201
amdhsa.version:
  - 1
  - 2
...

	.end_amdgpu_metadata
